;; amdgpu-corpus repo=ROCm/rocFFT kind=compiled arch=gfx906 opt=O3
	.text
	.amdgcn_target "amdgcn-amd-amdhsa--gfx906"
	.amdhsa_code_object_version 6
	.protected	bluestein_single_fwd_len1859_dim1_sp_op_CI_CI ; -- Begin function bluestein_single_fwd_len1859_dim1_sp_op_CI_CI
	.globl	bluestein_single_fwd_len1859_dim1_sp_op_CI_CI
	.p2align	8
	.type	bluestein_single_fwd_len1859_dim1_sp_op_CI_CI,@function
bluestein_single_fwd_len1859_dim1_sp_op_CI_CI: ; @bluestein_single_fwd_len1859_dim1_sp_op_CI_CI
; %bb.0:
	s_load_dwordx4 s[0:3], s[4:5], 0x28
	v_mul_u32_u24_e32 v1, 0x184, v0
	v_add_u32_sdwa v70, s6, v1 dst_sel:DWORD dst_unused:UNUSED_PAD src0_sel:DWORD src1_sel:WORD_1
	v_mov_b32_e32 v71, 0
	s_waitcnt lgkmcnt(0)
	v_cmp_gt_u64_e32 vcc, s[0:1], v[70:71]
	s_and_saveexec_b64 s[0:1], vcc
	s_cbranch_execz .LBB0_23
; %bb.1:
	s_load_dwordx2 s[10:11], s[4:5], 0x0
	s_load_dwordx2 s[8:9], s[4:5], 0x38
	s_movk_i32 s0, 0xa9
	v_mul_lo_u16_sdwa v1, v1, s0 dst_sel:DWORD dst_unused:UNUSED_PAD src0_sel:WORD_1 src1_sel:DWORD
	v_sub_u16_e32 v76, v0, v1
	s_movk_i32 s0, 0x8f
	v_cmp_gt_u16_e64 s[0:1], s0, v76
	v_lshlrev_b32_e32 v75, 3, v76
	s_and_saveexec_b64 s[6:7], s[0:1]
	s_cbranch_execz .LBB0_3
; %bb.2:
	s_load_dwordx2 s[12:13], s[4:5], 0x18
	s_waitcnt lgkmcnt(0)
	s_load_dwordx4 s[12:15], s[12:13], 0x0
	s_waitcnt lgkmcnt(0)
	v_mad_u64_u32 v[0:1], s[16:17], s14, v70, 0
	v_mad_u64_u32 v[2:3], s[16:17], s12, v76, 0
	;; [unrolled: 1-line block ×4, first 2 shown]
	v_mov_b32_e32 v1, v4
	v_lshlrev_b64 v[0:1], 3, v[0:1]
	v_mov_b32_e32 v3, v5
	v_mov_b32_e32 v6, s3
	v_lshlrev_b64 v[2:3], 3, v[2:3]
	v_add_co_u32_e32 v0, vcc, s2, v0
	v_addc_co_u32_e32 v1, vcc, v6, v1, vcc
	v_add_co_u32_e32 v0, vcc, v0, v2
	v_addc_co_u32_e32 v1, vcc, v1, v3, vcc
	v_mov_b32_e32 v2, s11
	v_add_co_u32_e32 v48, vcc, s10, v75
	s_mul_i32 s2, s13, 0x478
	s_mul_hi_u32 s3, s12, 0x478
	v_addc_co_u32_e32 v49, vcc, 0, v2, vcc
	s_add_i32 s2, s3, s2
	s_mul_i32 s3, s12, 0x478
	v_mov_b32_e32 v3, s2
	v_add_co_u32_e32 v2, vcc, s3, v0
	v_addc_co_u32_e32 v3, vcc, v1, v3, vcc
	v_mov_b32_e32 v5, s2
	v_add_co_u32_e32 v4, vcc, s3, v2
	v_addc_co_u32_e32 v5, vcc, v3, v5, vcc
	v_mov_b32_e32 v7, s2
	v_add_co_u32_e32 v6, vcc, s3, v4
	v_addc_co_u32_e32 v7, vcc, v5, v7, vcc
	global_load_dwordx2 v[8:9], v[0:1], off
	global_load_dwordx2 v[10:11], v[2:3], off
	;; [unrolled: 1-line block ×4, first 2 shown]
	global_load_dwordx2 v[16:17], v75, s[10:11]
	global_load_dwordx2 v[18:19], v75, s[10:11] offset:1144
	global_load_dwordx2 v[20:21], v75, s[10:11] offset:2288
	;; [unrolled: 1-line block ×3, first 2 shown]
	v_mov_b32_e32 v1, s2
	v_add_co_u32_e32 v0, vcc, s3, v6
	v_addc_co_u32_e32 v1, vcc, v7, v1, vcc
	s_movk_i32 s12, 0x1000
	v_add_co_u32_e32 v4, vcc, s12, v48
	v_addc_co_u32_e32 v5, vcc, 0, v49, vcc
	global_load_dwordx2 v[2:3], v[0:1], off
	v_mov_b32_e32 v6, s2
	v_add_co_u32_e32 v0, vcc, s3, v0
	v_addc_co_u32_e32 v1, vcc, v1, v6, vcc
	global_load_dwordx2 v[6:7], v[0:1], off
	v_mov_b32_e32 v24, s2
	;; [unrolled: 4-line block ×3, first 2 shown]
	v_add_co_u32_e32 v0, vcc, s3, v0
	v_addc_co_u32_e32 v1, vcc, v1, v26, vcc
	global_load_dwordx2 v[26:27], v[0:1], off
	global_load_dwordx2 v[28:29], v[4:5], off offset:480
	global_load_dwordx2 v[30:31], v[4:5], off offset:1624
	;; [unrolled: 1-line block ×4, first 2 shown]
	v_mov_b32_e32 v4, s2
	v_add_co_u32_e32 v0, vcc, s3, v0
	v_addc_co_u32_e32 v1, vcc, v1, v4, vcc
	s_movk_i32 s12, 0x2000
	v_add_co_u32_e32 v36, vcc, s12, v48
	v_addc_co_u32_e32 v37, vcc, 0, v49, vcc
	global_load_dwordx2 v[4:5], v[0:1], off
	v_mov_b32_e32 v38, s2
	v_add_co_u32_e32 v0, vcc, s3, v0
	v_addc_co_u32_e32 v1, vcc, v1, v38, vcc
	global_load_dwordx2 v[38:39], v[0:1], off
	v_mov_b32_e32 v40, s2
	v_add_co_u32_e32 v0, vcc, s3, v0
	v_addc_co_u32_e32 v1, vcc, v1, v40, vcc
	global_load_dwordx2 v[40:41], v[0:1], off
	global_load_dwordx2 v[42:43], v[36:37], off offset:960
	global_load_dwordx2 v[44:45], v[36:37], off offset:2104
	global_load_dwordx2 v[46:47], v[36:37], off offset:3248
	v_mov_b32_e32 v36, s2
	v_add_co_u32_e32 v0, vcc, s3, v0
	v_addc_co_u32_e32 v1, vcc, v1, v36, vcc
	s_movk_i32 s12, 0x3000
	v_add_co_u32_e32 v48, vcc, s12, v48
	v_addc_co_u32_e32 v49, vcc, 0, v49, vcc
	global_load_dwordx2 v[36:37], v[0:1], off
	global_load_dwordx2 v[50:51], v[48:49], off offset:296
	v_mov_b32_e32 v52, s2
	v_add_co_u32_e32 v0, vcc, s3, v0
	v_addc_co_u32_e32 v1, vcc, v1, v52, vcc
	global_load_dwordx2 v[52:53], v[0:1], off
	global_load_dwordx2 v[54:55], v[48:49], off offset:1440
	s_waitcnt vmcnt(21)
	v_mul_f32_e32 v0, v9, v17
	v_mul_f32_e32 v1, v8, v17
	v_fmac_f32_e32 v0, v8, v16
	v_fma_f32 v1, v9, v16, -v1
	s_waitcnt vmcnt(20)
	v_mul_f32_e32 v8, v11, v19
	v_mul_f32_e32 v9, v10, v19
	v_fmac_f32_e32 v8, v10, v18
	v_fma_f32 v9, v11, v18, -v9
	ds_write2_b64 v75, v[0:1], v[8:9] offset1:143
	s_waitcnt vmcnt(19)
	v_mul_f32_e32 v0, v13, v21
	v_mul_f32_e32 v1, v12, v21
	s_waitcnt vmcnt(18)
	v_mul_f32_e32 v8, v15, v23
	v_mul_f32_e32 v9, v14, v23
	v_fmac_f32_e32 v0, v12, v20
	v_fma_f32 v1, v13, v20, -v1
	v_fmac_f32_e32 v8, v14, v22
	v_fma_f32 v9, v15, v22, -v9
	v_add_u32_e32 v10, 0x800, v75
	ds_write2_b64 v10, v[0:1], v[8:9] offset0:30 offset1:173
	s_waitcnt vmcnt(13)
	v_mul_f32_e32 v0, v3, v29
	v_mul_f32_e32 v1, v2, v29
	v_fmac_f32_e32 v0, v2, v28
	v_fma_f32 v1, v3, v28, -v1
	s_waitcnt vmcnt(12)
	v_mul_f32_e32 v2, v7, v31
	v_mul_f32_e32 v3, v6, v31
	v_fmac_f32_e32 v2, v6, v30
	v_fma_f32 v3, v7, v30, -v3
	v_add_u32_e32 v6, 0x1000, v75
	ds_write2_b64 v6, v[0:1], v[2:3] offset0:60 offset1:203
	s_waitcnt vmcnt(11)
	v_mul_f32_e32 v0, v25, v33
	v_mul_f32_e32 v1, v24, v33
	s_waitcnt vmcnt(10)
	v_mul_f32_e32 v2, v27, v35
	v_mul_f32_e32 v3, v26, v35
	v_fmac_f32_e32 v0, v24, v32
	v_fma_f32 v1, v25, v32, -v1
	v_fmac_f32_e32 v2, v26, v34
	v_fma_f32 v3, v27, v34, -v3
	v_add_u32_e32 v6, 0x1800, v75
	ds_write2_b64 v6, v[0:1], v[2:3] offset0:90 offset1:233
	s_waitcnt vmcnt(6)
	v_mul_f32_e32 v0, v5, v43
	v_mul_f32_e32 v1, v4, v43
	s_waitcnt vmcnt(5)
	v_mul_f32_e32 v2, v39, v45
	v_mul_f32_e32 v3, v38, v45
	v_fmac_f32_e32 v0, v4, v42
	v_fma_f32 v1, v5, v42, -v1
	v_fmac_f32_e32 v2, v38, v44
	v_fma_f32 v3, v39, v44, -v3
	v_add_u32_e32 v4, 0x2200, v75
	ds_write2_b64 v4, v[0:1], v[2:3] offset0:56 offset1:199
	s_waitcnt vmcnt(4)
	v_mul_f32_e32 v0, v41, v47
	v_mul_f32_e32 v1, v40, v47
	v_fmac_f32_e32 v0, v40, v46
	v_fma_f32 v1, v41, v46, -v1
	s_waitcnt vmcnt(2)
	v_mul_f32_e32 v2, v37, v51
	v_mul_f32_e32 v3, v36, v51
	v_fmac_f32_e32 v2, v36, v50
	v_fma_f32 v3, v37, v50, -v3
	v_add_u32_e32 v4, 0x2c00, v75
	ds_write2_b64 v4, v[0:1], v[2:3] offset0:22 offset1:165
	s_waitcnt vmcnt(0)
	v_mul_f32_e32 v0, v53, v55
	v_mul_f32_e32 v1, v52, v55
	v_fmac_f32_e32 v0, v52, v54
	v_fma_f32 v1, v53, v54, -v1
	ds_write_b64 v75, v[0:1] offset:13728
.LBB0_3:
	s_or_b64 exec, exec, s[6:7]
	s_load_dwordx2 s[6:7], s[4:5], 0x20
	s_load_dwordx2 s[2:3], s[4:5], 0x8
	v_mov_b32_e32 v0, 0
	v_mov_b32_e32 v1, 0
	s_waitcnt lgkmcnt(0)
	s_barrier
	s_waitcnt lgkmcnt(0)
                                        ; implicit-def: $vgpr14
                                        ; implicit-def: $vgpr8
                                        ; implicit-def: $vgpr4
                                        ; implicit-def: $vgpr24
                                        ; implicit-def: $vgpr18
                                        ; implicit-def: $vgpr22
	s_and_saveexec_b64 s[4:5], s[0:1]
	s_cbranch_execz .LBB0_5
; %bb.4:
	v_add_u32_e32 v4, 0x800, v75
	ds_read2_b64 v[20:23], v4 offset0:30 offset1:173
	v_add_u32_e32 v4, 0x1000, v75
	ds_read2_b64 v[16:19], v4 offset0:60 offset1:203
	v_add_u32_e32 v4, 0x1800, v75
	ds_read2_b64 v[12:15], v4 offset0:90 offset1:233
	v_add_u32_e32 v4, 0x2200, v75
	ds_read2_b64 v[8:11], v4 offset0:56 offset1:199
	v_add_u32_e32 v4, 0x2c00, v75
	ds_read2_b64 v[0:3], v75 offset1:143
	ds_read2_b64 v[4:7], v4 offset0:22 offset1:165
	ds_read_b64 v[24:25], v75 offset:13728
.LBB0_5:
	s_or_b64 exec, exec, s[4:5]
	s_waitcnt lgkmcnt(0)
	v_sub_f32_e32 v52, v3, v25
	v_mul_f32_e32 v38, 0xbeedf032, v52
	v_add_f32_e32 v26, v24, v2
	v_sub_f32_e32 v58, v2, v24
	v_mov_b32_e32 v28, v38
	v_add_f32_e32 v27, v25, v3
	s_mov_b32 s12, 0x3f62ad3f
	v_mul_f32_e32 v40, 0xbeedf032, v58
	v_fmac_f32_e32 v28, 0x3f62ad3f, v26
	v_add_f32_e32 v30, v28, v0
	v_fma_f32 v28, v27, s12, -v40
	v_mul_f32_e32 v43, 0xbf52af12, v52
	v_add_f32_e32 v31, v28, v1
	v_mov_b32_e32 v28, v43
	s_mov_b32 s13, 0x3f116cb1
	v_mul_f32_e32 v49, 0xbf52af12, v58
	v_fmac_f32_e32 v28, 0x3f116cb1, v26
	v_sub_f32_e32 v57, v21, v7
	v_add_f32_e32 v32, v28, v0
	v_fma_f32 v28, v27, s13, -v49
	v_mul_f32_e32 v39, 0xbf52af12, v57
	v_add_f32_e32 v33, v28, v1
	v_add_f32_e32 v28, v6, v20
	v_sub_f32_e32 v64, v20, v6
	v_mov_b32_e32 v34, v39
	v_add_f32_e32 v29, v7, v21
	v_mul_f32_e32 v42, 0xbf52af12, v64
	v_fmac_f32_e32 v34, 0x3f116cb1, v28
	v_add_f32_e32 v34, v34, v30
	v_fma_f32 v30, v29, s13, -v42
	v_mul_f32_e32 v48, 0xbf6f5d39, v57
	v_add_f32_e32 v35, v30, v31
	v_mov_b32_e32 v30, v48
	s_mov_b32 s14, 0xbeb58ec6
	v_mul_f32_e32 v54, 0xbf6f5d39, v64
	v_fmac_f32_e32 v30, 0xbeb58ec6, v28
	v_sub_f32_e32 v62, v23, v5
	v_add_f32_e32 v32, v30, v32
	v_fma_f32 v30, v29, s14, -v54
	v_mul_f32_e32 v41, 0xbf7e222b, v62
	v_add_f32_e32 v33, v30, v33
	v_add_f32_e32 v30, v4, v22
	v_sub_f32_e32 v67, v22, v4
	v_mov_b32_e32 v36, v41
	v_add_f32_e32 v31, v5, v23
	s_mov_b32 s15, 0x3df6dbef
	v_mul_f32_e32 v45, 0xbf7e222b, v67
	v_fmac_f32_e32 v36, 0x3df6dbef, v30
	v_add_f32_e32 v36, v36, v34
	v_fma_f32 v34, v31, s15, -v45
	v_mul_f32_e32 v53, 0xbe750f2a, v62
	v_add_f32_e32 v35, v34, v35
	v_mov_b32_e32 v34, v53
	s_mov_b32 s16, 0xbf788fa5
	v_mul_f32_e32 v60, 0xbe750f2a, v67
	v_fmac_f32_e32 v34, 0xbf788fa5, v30
	v_sub_f32_e32 v71, v17, v11
	v_add_f32_e32 v37, v34, v32
	v_fma_f32 v32, v31, s16, -v60
	v_mul_f32_e32 v44, 0xbf6f5d39, v71
	v_add_f32_e32 v33, v32, v33
	v_add_f32_e32 v32, v10, v16
	v_sub_f32_e32 v73, v16, v10
	v_mov_b32_e32 v46, v44
	v_add_f32_e32 v34, v11, v17
	v_mul_f32_e32 v51, 0xbf6f5d39, v73
	v_fmac_f32_e32 v46, 0xbeb58ec6, v32
	v_add_f32_e32 v46, v46, v36
	v_fma_f32 v36, v34, s14, -v51
	v_mul_f32_e32 v59, 0x3f29c268, v71
	v_add_f32_e32 v35, v36, v35
	v_mov_b32_e32 v36, v59
	s_mov_b32 s17, 0xbf3f9e67
	v_mul_f32_e32 v65, 0x3f29c268, v73
	v_fmac_f32_e32 v36, 0xbf3f9e67, v32
	v_sub_f32_e32 v74, v19, v9
	v_add_f32_e32 v37, v36, v37
	v_fma_f32 v36, v34, s17, -v65
	v_mul_f32_e32 v50, 0xbf29c268, v74
	v_add_f32_e32 v47, v36, v33
	v_add_f32_e32 v33, v8, v18
	v_sub_f32_e32 v81, v18, v8
	v_mov_b32_e32 v55, v50
	v_add_f32_e32 v36, v9, v19
	v_mul_f32_e32 v56, 0xbf29c268, v81
	v_fmac_f32_e32 v55, 0xbf3f9e67, v33
	v_add_f32_e32 v46, v55, v46
	v_fma_f32 v55, v36, s17, -v56
	v_mul_f32_e32 v63, 0x3f7e222b, v74
	v_add_f32_e32 v66, v55, v35
	v_mov_b32_e32 v35, v63
	v_mul_f32_e32 v72, 0x3f7e222b, v81
	v_fmac_f32_e32 v35, 0x3df6dbef, v33
	v_sub_f32_e32 v79, v13, v15
	v_add_f32_e32 v77, v35, v37
	v_fma_f32 v35, v36, s15, -v72
	v_mul_f32_e32 v55, 0xbe750f2a, v79
	v_add_f32_e32 v47, v35, v47
	v_add_f32_e32 v35, v14, v12
	v_sub_f32_e32 v80, v12, v14
	v_mov_b32_e32 v68, v55
	v_add_f32_e32 v37, v15, v13
	v_mul_f32_e32 v61, 0xbe750f2a, v80
	v_fmac_f32_e32 v68, 0xbf788fa5, v35
	v_add_f32_e32 v68, v68, v46
	v_fma_f32 v46, v37, s16, -v61
	v_add_f32_e32 v69, v46, v66
	v_mul_f32_e32 v66, 0x3eedf032, v79
	v_mul_f32_e32 v78, 0x3eedf032, v80
	v_mov_b32_e32 v46, v66
	v_fmac_f32_e32 v46, 0x3f62ad3f, v35
	v_fma_f32 v82, v37, s12, -v78
	v_add_f32_e32 v46, v46, v77
	v_add_f32_e32 v47, v82, v47
	v_mul_lo_u16_e32 v77, 13, v76
	s_barrier
	s_and_saveexec_b64 s[4:5], s[0:1]
	s_cbranch_execz .LBB0_7
; %bb.6:
	v_add_f32_e32 v3, v3, v1
	v_add_f32_e32 v3, v21, v3
	;; [unrolled: 1-line block ×13, first 2 shown]
	v_mul_f32_e32 v22, 0xbe750f2a, v52
	v_add_f32_e32 v2, v14, v2
	v_fma_f32 v13, v26, s16, -v22
	v_add_f32_e32 v3, v9, v3
	v_mul_f32_e32 v23, 0x3eedf032, v57
	v_add_f32_e32 v13, v13, v0
	v_add_f32_e32 v9, v11, v3
	;; [unrolled: 1-line block ×3, first 2 shown]
	v_fma_f32 v3, v28, s12, -v23
	v_mul_f32_e32 v82, 0xbf29c268, v62
	v_add_f32_e32 v2, v10, v2
	v_add_f32_e32 v3, v3, v13
	v_fma_f32 v8, v30, s17, -v82
	v_mul_f32_e32 v83, 0x3f52af12, v71
	v_add_f32_e32 v3, v8, v3
	v_fma_f32 v8, v32, s13, -v83
	v_add_f32_e32 v2, v4, v2
	v_mul_f32_e32 v84, 0xbf6f5d39, v74
	v_add_f32_e32 v8, v8, v3
	v_add_f32_e32 v4, v6, v2
	v_fma_f32 v2, v33, s14, -v84
	v_mul_f32_e32 v85, 0x3f7e222b, v79
	v_add_f32_e32 v2, v2, v8
	v_fma_f32 v6, v35, s15, -v85
	v_mul_f32_e32 v86, 0xbf29c268, v58
	v_add_f32_e32 v5, v5, v9
	v_add_f32_e32 v2, v6, v2
	v_mov_b32_e32 v6, v86
	v_add_f32_e32 v4, v24, v4
	v_mul_f32_e32 v24, 0x3f7e222b, v64
	v_add_f32_e32 v5, v7, v5
	v_fmac_f32_e32 v6, 0xbf3f9e67, v27
	v_mov_b32_e32 v7, v24
	v_add_f32_e32 v6, v6, v1
	v_add_f32_e32 v5, v25, v5
	v_fmac_f32_e32 v7, 0x3df6dbef, v29
	v_mul_f32_e32 v25, 0xbf52af12, v67
	v_add_f32_e32 v6, v7, v6
	v_mov_b32_e32 v7, v25
	v_fmac_f32_e32 v7, 0x3f116cb1, v31
	v_mul_f32_e32 v87, 0x3e750f2a, v73
	v_add_f32_e32 v6, v7, v6
	v_mov_b32_e32 v7, v87
	;; [unrolled: 4-line block ×3, first 2 shown]
	v_fmac_f32_e32 v7, 0x3f62ad3f, v36
	v_mul_f32_e32 v89, 0xbf29c268, v52
	v_add_f32_e32 v6, v7, v6
	v_fma_f32 v7, v26, s17, -v89
	v_mul_f32_e32 v90, 0x3f7e222b, v57
	v_add_f32_e32 v7, v7, v0
	v_fma_f32 v8, v28, s15, -v90
	v_mul_f32_e32 v91, 0xbf52af12, v62
	v_add_f32_e32 v7, v8, v7
	v_fma_f32 v8, v30, s13, -v91
	v_mul_f32_e32 v92, 0x3e750f2a, v71
	v_add_f32_e32 v7, v8, v7
	v_fma_f32 v8, v32, s16, -v92
	v_mul_f32_e32 v93, 0x3eedf032, v74
	v_add_f32_e32 v7, v8, v7
	v_fma_f32 v8, v33, s12, -v93
	v_mul_f32_e32 v94, 0xbf6f5d39, v80
	v_add_f32_e32 v8, v8, v7
	v_mov_b32_e32 v7, v94
	v_fmac_f32_e32 v7, 0xbeb58ec6, v37
	v_mul_f32_e32 v95, 0xbf6f5d39, v79
	v_add_f32_e32 v7, v7, v6
	v_fma_f32 v6, v35, s14, -v95
	v_mul_f32_e32 v96, 0xbf6f5d39, v58
	v_add_f32_e32 v6, v6, v8
	v_mov_b32_e32 v8, v96
	v_mul_f32_e32 v97, 0x3f29c268, v64
	v_fmac_f32_e32 v8, 0xbeb58ec6, v27
	v_mov_b32_e32 v9, v97
	v_add_f32_e32 v8, v8, v1
	v_fmac_f32_e32 v9, 0xbf3f9e67, v29
	v_mul_f32_e32 v98, 0x3eedf032, v67
	v_add_f32_e32 v8, v9, v8
	v_mov_b32_e32 v9, v98
	v_fmac_f32_e32 v9, 0x3f62ad3f, v31
	v_mul_f32_e32 v99, 0xbf7e222b, v73
	v_add_f32_e32 v8, v9, v8
	v_mov_b32_e32 v9, v99
	v_fmac_f32_e32 v9, 0x3df6dbef, v34
	v_mul_f32_e32 v100, 0x3e750f2a, v81
	v_add_f32_e32 v8, v9, v8
	v_mov_b32_e32 v9, v100
	v_fmac_f32_e32 v9, 0xbf788fa5, v36
	v_mul_f32_e32 v101, 0xbf6f5d39, v52
	v_add_f32_e32 v8, v9, v8
	v_fma_f32 v9, v26, s14, -v101
	v_mul_f32_e32 v102, 0x3f29c268, v57
	v_add_f32_e32 v9, v9, v0
	v_fma_f32 v10, v28, s17, -v102
	v_mul_f32_e32 v103, 0x3eedf032, v62
	v_mul_f32_e32 v20, 0xbe750f2a, v58
	v_add_f32_e32 v9, v10, v9
	v_fma_f32 v10, v30, s12, -v103
	v_mul_f32_e32 v104, 0xbf7e222b, v71
	v_mov_b32_e32 v16, v20
	v_mul_f32_e32 v17, 0x3eedf032, v64
	v_add_f32_e32 v9, v10, v9
	v_fma_f32 v10, v32, s15, -v104
	v_mul_f32_e32 v105, 0x3e750f2a, v74
	v_fmac_f32_e32 v16, 0xbf788fa5, v27
	v_mov_b32_e32 v18, v17
	v_add_f32_e32 v9, v10, v9
	v_fma_f32 v10, v33, s16, -v105
	v_mul_f32_e32 v106, 0x3f52af12, v80
	v_add_f32_e32 v16, v16, v1
	v_fmac_f32_e32 v18, 0x3f62ad3f, v29
	v_add_f32_e32 v10, v10, v9
	v_mov_b32_e32 v9, v106
	v_add_f32_e32 v16, v18, v16
	v_mul_f32_e32 v18, 0xbf29c268, v67
	v_fmac_f32_e32 v9, 0x3f116cb1, v37
	v_mul_f32_e32 v107, 0x3f52af12, v79
	v_mov_b32_e32 v19, v18
	v_add_f32_e32 v9, v9, v8
	v_fma_f32 v8, v35, s13, -v107
	v_mul_f32_e32 v58, 0xbf7e222b, v58
	v_fmac_f32_e32 v19, 0xbf3f9e67, v31
	v_add_f32_e32 v8, v8, v10
	v_mov_b32_e32 v10, v58
	v_mul_f32_e32 v64, 0xbe750f2a, v64
	v_add_f32_e32 v16, v19, v16
	v_mul_f32_e32 v19, 0x3f52af12, v73
	v_fmac_f32_e32 v10, 0x3df6dbef, v27
	v_mov_b32_e32 v11, v64
	v_mov_b32_e32 v21, v19
	v_add_f32_e32 v10, v10, v1
	v_fmac_f32_e32 v11, 0xbf788fa5, v29
	v_mul_f32_e32 v67, 0x3f6f5d39, v67
	v_fmac_f32_e32 v21, 0x3f116cb1, v34
	v_add_f32_e32 v10, v11, v10
	v_mov_b32_e32 v11, v67
	v_add_f32_e32 v16, v21, v16
	v_mul_f32_e32 v21, 0xbf6f5d39, v81
	v_fmac_f32_e32 v11, 0xbeb58ec6, v31
	v_mul_f32_e32 v73, 0x3eedf032, v73
	v_mov_b32_e32 v12, v21
	v_add_f32_e32 v10, v11, v10
	v_mov_b32_e32 v11, v73
	v_fmac_f32_e32 v12, 0xbeb58ec6, v36
	v_fmac_f32_e32 v11, 0x3f62ad3f, v34
	v_mul_f32_e32 v81, 0xbf52af12, v81
	v_add_f32_e32 v12, v12, v16
	v_mul_f32_e32 v16, 0x3f7e222b, v80
	v_add_f32_e32 v10, v11, v10
	v_mov_b32_e32 v11, v81
	v_mov_b32_e32 v3, v16
	v_fmac_f32_e32 v11, 0x3f116cb1, v36
	v_mul_f32_e32 v52, 0xbf7e222b, v52
	v_fmac_f32_e32 v3, 0x3df6dbef, v37
	v_add_f32_e32 v10, v11, v10
	v_fma_f32 v11, v26, s15, -v52
	v_mul_f32_e32 v57, 0xbe750f2a, v57
	v_add_f32_e32 v3, v3, v12
	v_add_f32_e32 v11, v11, v0
	v_fma_f32 v12, v28, s16, -v57
	v_mul_f32_e32 v62, 0x3f6f5d39, v62
	v_add_f32_e32 v11, v12, v11
	v_fma_f32 v12, v30, s14, -v62
	v_mul_f32_e32 v71, 0x3eedf032, v71
	;; [unrolled: 3-line block ×4, first 2 shown]
	v_add_f32_e32 v12, v12, v11
	v_mov_b32_e32 v11, v80
	v_fmac_f32_e32 v11, 0xbf3f9e67, v37
	v_mul_f32_e32 v79, 0xbf29c268, v79
	v_add_f32_e32 v11, v11, v10
	v_fma_f32 v10, v35, s17, -v79
	v_add_f32_e32 v10, v10, v12
	v_mul_f32_e32 v12, 0x3f116cb1, v27
	v_mul_f32_e32 v14, 0x3f116cb1, v26
	v_add_f32_e32 v12, v49, v12
	v_mul_f32_e32 v13, 0xbeb58ec6, v29
	v_sub_f32_e32 v14, v14, v43
	v_mul_f32_e32 v15, 0xbeb58ec6, v28
	v_add_f32_e32 v13, v54, v13
	v_add_f32_e32 v12, v12, v1
	v_sub_f32_e32 v15, v15, v48
	v_add_f32_e32 v14, v14, v0
	v_add_f32_e32 v12, v13, v12
	v_mul_f32_e32 v13, 0xbf788fa5, v31
	v_add_f32_e32 v14, v15, v14
	v_mul_f32_e32 v15, 0xbf788fa5, v30
	v_add_f32_e32 v13, v60, v13
	v_sub_f32_e32 v15, v15, v53
	v_add_f32_e32 v12, v13, v12
	v_mul_f32_e32 v13, 0xbf3f9e67, v34
	v_add_f32_e32 v14, v15, v14
	v_mul_f32_e32 v15, 0xbf3f9e67, v32
	v_add_f32_e32 v13, v65, v13
	v_sub_f32_e32 v15, v15, v59
	v_fma_f32 v20, v27, s16, -v20
	v_add_f32_e32 v12, v13, v12
	v_mul_f32_e32 v13, 0x3df6dbef, v36
	v_add_f32_e32 v14, v15, v14
	v_mul_f32_e32 v15, 0x3df6dbef, v33
	v_add_f32_e32 v20, v20, v1
	v_fma_f32 v17, v29, s12, -v17
	v_add_f32_e32 v13, v72, v13
	v_sub_f32_e32 v15, v15, v63
	v_add_f32_e32 v17, v17, v20
	v_fma_f32 v18, v31, s17, -v18
	v_add_f32_e32 v12, v13, v12
	v_mul_f32_e32 v13, 0x3f62ad3f, v37
	v_add_f32_e32 v14, v15, v14
	v_mul_f32_e32 v15, 0x3f62ad3f, v35
	v_add_f32_e32 v17, v18, v17
	v_fma_f32 v18, v34, s13, -v19
	v_add_f32_e32 v13, v78, v13
	v_sub_f32_e32 v15, v15, v66
	v_add_f32_e32 v17, v18, v17
	v_fma_f32 v18, v36, s14, -v21
	v_fmac_f32_e32 v22, 0xbf788fa5, v26
	v_add_f32_e32 v13, v13, v12
	v_add_f32_e32 v12, v15, v14
	v_mul_f32_e32 v14, 0x3f62ad3f, v27
	v_add_f32_e32 v17, v18, v17
	v_add_f32_e32 v18, v22, v0
	v_fmac_f32_e32 v23, 0x3f62ad3f, v28
	v_add_f32_e32 v14, v40, v14
	v_mul_f32_e32 v40, 0x3f62ad3f, v26
	v_add_f32_e32 v18, v23, v18
	v_fma_f32 v16, v37, s15, -v16
	v_fmac_f32_e32 v82, 0xbf3f9e67, v30
	v_mul_f32_e32 v15, 0x3f116cb1, v29
	v_sub_f32_e32 v38, v40, v38
	v_mul_f32_e32 v40, 0x3f116cb1, v28
	v_add_f32_e32 v17, v16, v17
	v_add_f32_e32 v16, v82, v18
	v_fma_f32 v18, v27, s17, -v86
	v_fma_f32 v20, v27, s14, -v96
	v_add_f32_e32 v15, v42, v15
	v_add_f32_e32 v14, v14, v1
	v_sub_f32_e32 v39, v40, v39
	v_add_f32_e32 v38, v38, v0
	v_add_f32_e32 v18, v18, v1
	v_fma_f32 v19, v29, s15, -v24
	v_add_f32_e32 v20, v20, v1
	v_fma_f32 v21, v29, s17, -v97
	v_add_f32_e32 v14, v15, v14
	v_mul_f32_e32 v15, 0x3df6dbef, v31
	v_add_f32_e32 v38, v39, v38
	v_mul_f32_e32 v39, 0x3df6dbef, v30
	v_add_f32_e32 v18, v19, v18
	v_fma_f32 v19, v31, s13, -v25
	v_add_f32_e32 v20, v21, v20
	v_fma_f32 v21, v31, s12, -v98
	v_add_f32_e32 v15, v45, v15
	v_sub_f32_e32 v39, v39, v41
	v_add_f32_e32 v18, v19, v18
	v_fma_f32 v19, v34, s16, -v87
	v_add_f32_e32 v20, v21, v20
	v_fma_f32 v21, v34, s15, -v99
	v_add_f32_e32 v14, v15, v14
	v_mul_f32_e32 v15, 0xbeb58ec6, v34
	v_add_f32_e32 v38, v39, v38
	v_mul_f32_e32 v39, 0xbeb58ec6, v32
	v_add_f32_e32 v18, v19, v18
	v_fma_f32 v19, v36, s12, -v88
	v_add_f32_e32 v20, v21, v20
	v_fma_f32 v21, v36, s16, -v100
	v_fma_f32 v22, v27, s15, -v58
	v_add_f32_e32 v15, v51, v15
	v_sub_f32_e32 v39, v39, v44
	v_add_f32_e32 v18, v19, v18
	v_fma_f32 v19, v37, s14, -v94
	v_fmac_f32_e32 v89, 0xbf3f9e67, v26
	v_add_f32_e32 v20, v21, v20
	v_fma_f32 v21, v37, s13, -v106
	v_fmac_f32_e32 v101, 0xbeb58ec6, v26
	v_add_f32_e32 v1, v22, v1
	v_fma_f32 v22, v29, s16, -v64
	v_fmac_f32_e32 v52, 0x3df6dbef, v26
	v_add_f32_e32 v14, v15, v14
	v_mul_f32_e32 v15, 0xbf3f9e67, v36
	v_add_f32_e32 v38, v39, v38
	v_mul_f32_e32 v39, 0xbf3f9e67, v33
	v_add_f32_e32 v19, v19, v18
	v_add_f32_e32 v18, v89, v0
	v_fmac_f32_e32 v90, 0x3df6dbef, v28
	v_add_f32_e32 v21, v21, v20
	v_add_f32_e32 v20, v101, v0
	v_fmac_f32_e32 v102, 0xbf3f9e67, v28
	v_add_f32_e32 v1, v22, v1
	v_fma_f32 v22, v31, s14, -v67
	v_add_f32_e32 v0, v52, v0
	v_fmac_f32_e32 v57, 0xbf788fa5, v28
	v_add_f32_e32 v15, v56, v15
	v_sub_f32_e32 v39, v39, v50
	v_add_f32_e32 v18, v90, v18
	v_fmac_f32_e32 v91, 0x3f116cb1, v30
	v_add_f32_e32 v20, v102, v20
	v_fmac_f32_e32 v103, 0x3f62ad3f, v30
	v_add_f32_e32 v1, v22, v1
	v_fma_f32 v22, v34, s12, -v73
	v_add_f32_e32 v0, v57, v0
	v_fmac_f32_e32 v62, 0xbeb58ec6, v30
	v_add_f32_e32 v14, v15, v14
	v_mul_f32_e32 v15, 0xbf788fa5, v37
	v_add_f32_e32 v38, v39, v38
	v_mul_f32_e32 v39, 0xbf788fa5, v35
	v_fmac_f32_e32 v83, 0x3f116cb1, v32
	v_add_f32_e32 v18, v91, v18
	v_fmac_f32_e32 v92, 0xbf788fa5, v32
	v_add_f32_e32 v20, v103, v20
	v_fmac_f32_e32 v104, 0x3df6dbef, v32
	v_add_f32_e32 v1, v22, v1
	v_fma_f32 v22, v36, s13, -v81
	v_add_f32_e32 v0, v62, v0
	v_fmac_f32_e32 v71, 0x3f62ad3f, v32
	v_add_f32_e32 v15, v61, v15
	v_sub_f32_e32 v39, v39, v55
	v_add_f32_e32 v16, v83, v16
	v_fmac_f32_e32 v84, 0xbeb58ec6, v33
	v_add_f32_e32 v18, v92, v18
	v_fmac_f32_e32 v93, 0x3f62ad3f, v33
	;; [unrolled: 2-line block ×3, first 2 shown]
	v_add_f32_e32 v1, v22, v1
	v_fma_f32 v22, v37, s17, -v80
	v_add_f32_e32 v0, v71, v0
	v_fmac_f32_e32 v74, 0x3f116cb1, v33
	v_add_f32_e32 v15, v15, v14
	v_add_f32_e32 v14, v39, v38
	v_add_f32_e32 v16, v84, v16
	v_fmac_f32_e32 v85, 0x3df6dbef, v35
	v_add_f32_e32 v18, v93, v18
	v_fmac_f32_e32 v95, 0xbeb58ec6, v35
	v_add_f32_e32 v20, v105, v20
	;; [unrolled: 2-line block ×3, first 2 shown]
	v_add_f32_e32 v0, v74, v0
	v_fmac_f32_e32 v79, 0xbf3f9e67, v35
	v_lshlrev_b32_e32 v22, 3, v77
	v_add_f32_e32 v16, v85, v16
	v_add_f32_e32 v18, v95, v18
	v_add_f32_e32 v20, v107, v20
	v_add_f32_e32 v0, v79, v0
	ds_write2_b64 v22, v[4:5], v[14:15] offset1:1
	ds_write2_b64 v22, v[12:13], v[10:11] offset0:2 offset1:3
	ds_write2_b64 v22, v[8:9], v[6:7] offset0:4 offset1:5
	;; [unrolled: 1-line block ×5, first 2 shown]
	ds_write_b64 v22, v[68:69] offset:96
.LBB0_7:
	s_or_b64 exec, exec, s[4:5]
	s_movk_i32 s12, 0x4f
	v_mul_lo_u16_sdwa v0, v76, s12 dst_sel:DWORD dst_unused:UNUSED_PAD src0_sel:BYTE_0 src1_sel:DWORD
	v_lshrrev_b16_e32 v15, 10, v0
	v_mul_lo_u16_e32 v0, 13, v15
	v_sub_u16_e32 v0, v76, v0
	v_and_b32_e32 v71, 0xff, v0
	v_mul_u32_u24_e32 v0, 10, v71
	v_lshlrev_b32_e32 v8, 3, v0
	s_load_dwordx4 s[4:7], s[6:7], 0x0
	s_waitcnt lgkmcnt(0)
	s_barrier
	global_load_dwordx4 v[20:23], v8, s[2:3]
	global_load_dwordx4 v[16:19], v8, s[2:3] offset:16
	global_load_dwordx4 v[4:7], v8, s[2:3] offset:32
	;; [unrolled: 1-line block ×4, first 2 shown]
	ds_read2_b64 v[9:12], v75 offset1:169
	ds_read_b64 v[13:14], v75 offset:13520
	v_add_u32_e32 v8, 0x800, v75
	v_add_u32_e32 v32, 0x1400, v75
	;; [unrolled: 1-line block ×4, first 2 shown]
	ds_read2_b64 v[28:31], v8 offset0:82 offset1:251
	ds_read2_b64 v[32:35], v32 offset0:36 offset1:205
	ds_read2_b64 v[36:39], v36 offset0:54 offset1:223
	ds_read2_b64 v[40:43], v40 offset0:72 offset1:241
	s_mov_b32 s12, 0x3f575c64
	s_mov_b32 s13, 0x3ed4b147
	;; [unrolled: 1-line block ×5, first 2 shown]
	s_waitcnt vmcnt(0) lgkmcnt(0)
	s_barrier
	v_mul_f32_e32 v44, v12, v21
	v_mul_f32_e32 v45, v11, v21
	;; [unrolled: 1-line block ×3, first 2 shown]
	v_fma_f32 v11, v11, v20, -v44
	v_mul_f32_e32 v65, v13, v27
	v_mul_f32_e32 v50, v28, v23
	;; [unrolled: 1-line block ×5, first 2 shown]
	v_fmac_f32_e32 v45, v12, v20
	v_fma_f32 v12, v28, v22, -v48
	v_fmac_f32_e32 v65, v14, v26
	v_add_f32_e32 v14, v9, v11
	v_mul_f32_e32 v51, v30, v17
	v_mul_f32_e32 v52, v33, v19
	;; [unrolled: 1-line block ×3, first 2 shown]
	v_fmac_f32_e32 v50, v29, v22
	v_fma_f32 v28, v30, v16, -v49
	v_fmac_f32_e32 v55, v35, v4
	v_add_f32_e32 v35, v10, v45
	v_add_f32_e32 v14, v14, v12
	v_mul_f32_e32 v53, v32, v19
	v_fmac_f32_e32 v51, v31, v16
	v_fma_f32 v29, v32, v18, -v52
	v_add_f32_e32 v35, v35, v50
	v_add_f32_e32 v14, v14, v28
	v_mul_f32_e32 v56, v37, v7
	v_fmac_f32_e32 v53, v33, v18
	v_fma_f32 v30, v34, v4, -v54
	v_add_f32_e32 v35, v35, v51
	v_add_f32_e32 v14, v14, v29
	v_mul_f32_e32 v57, v36, v7
	v_mul_f32_e32 v58, v39, v1
	v_fma_f32 v31, v36, v6, -v56
	v_add_f32_e32 v35, v35, v53
	v_add_f32_e32 v14, v14, v30
	v_mul_f32_e32 v59, v38, v1
	v_mul_f32_e32 v60, v41, v3
	v_fmac_f32_e32 v57, v37, v6
	v_fma_f32 v32, v38, v0, -v58
	v_add_f32_e32 v35, v35, v55
	v_add_f32_e32 v14, v14, v31
	v_mul_f32_e32 v61, v40, v3
	v_mul_f32_e32 v62, v43, v25
	v_fmac_f32_e32 v59, v39, v0
	v_fma_f32 v33, v40, v2, -v60
	v_fma_f32 v13, v13, v26, -v64
	v_add_f32_e32 v35, v35, v57
	v_add_f32_e32 v14, v14, v32
	v_mul_f32_e32 v63, v42, v25
	v_fmac_f32_e32 v61, v41, v2
	v_fma_f32 v34, v42, v24, -v62
	v_add_f32_e32 v36, v11, v13
	v_sub_f32_e32 v11, v11, v13
	v_add_f32_e32 v35, v35, v59
	v_add_f32_e32 v14, v14, v33
	v_fmac_f32_e32 v63, v43, v24
	v_add_f32_e32 v37, v45, v65
	v_mul_f32_e32 v40, 0xbf0a6770, v11
	v_add_f32_e32 v35, v35, v61
	v_add_f32_e32 v14, v14, v34
	v_mov_b32_e32 v42, v40
	v_add_f32_e32 v35, v35, v63
	v_add_f32_e32 v48, v14, v13
	v_fma_f32 v14, v37, s12, -v40
	v_mul_f32_e32 v40, 0xbf68dda4, v11
	v_mul_f32_e32 v52, 0xbf7d64f0, v11
	;; [unrolled: 1-line block ×4, first 2 shown]
	v_sub_f32_e32 v38, v45, v65
	v_add_f32_e32 v49, v35, v65
	v_mov_b32_e32 v43, v40
	v_mov_b32_e32 v54, v52
	;; [unrolled: 1-line block ×4, first 2 shown]
	v_mul_f32_e32 v39, 0xbf0a6770, v38
	v_fmac_f32_e32 v42, 0x3f575c64, v37
	v_fmac_f32_e32 v43, 0x3ed4b147, v37
	v_fma_f32 v40, v37, s13, -v40
	v_fmac_f32_e32 v54, 0xbe11bafb, v37
	v_fma_f32 v52, v37, s14, -v52
	;; [unrolled: 2-line block ×4, first 2 shown]
	v_fma_f32 v41, v36, s12, -v39
	v_fmac_f32_e32 v39, 0x3f575c64, v36
	v_add_f32_e32 v42, v10, v42
	v_add_f32_e32 v14, v10, v14
	v_mul_f32_e32 v35, 0xbf68dda4, v38
	v_add_f32_e32 v43, v10, v43
	v_add_f32_e32 v40, v10, v40
	v_mul_f32_e32 v44, 0xbf7d64f0, v38
	;; [unrolled: 3-line block ×4, first 2 shown]
	v_add_f32_e32 v65, v10, v65
	v_add_f32_e32 v10, v10, v11
	;; [unrolled: 1-line block ×3, first 2 shown]
	v_sub_f32_e32 v12, v12, v34
	v_sub_f32_e32 v34, v50, v63
	v_add_f32_e32 v13, v9, v39
	v_fma_f32 v39, v36, s13, -v35
	v_fmac_f32_e32 v35, 0x3ed4b147, v36
	v_fma_f32 v45, v36, s14, -v44
	v_fmac_f32_e32 v44, 0xbe11bafb, v36
	;; [unrolled: 2-line block ×4, first 2 shown]
	v_mul_f32_e32 v37, 0xbf68dda4, v34
	v_add_f32_e32 v41, v9, v41
	v_add_f32_e32 v39, v9, v39
	;; [unrolled: 1-line block ×9, first 2 shown]
	v_fma_f32 v38, v11, s13, -v37
	v_add_f32_e32 v36, v50, v63
	v_add_f32_e32 v38, v38, v41
	v_mul_f32_e32 v41, 0xbf68dda4, v12
	v_fmac_f32_e32 v37, 0x3ed4b147, v11
	v_add_f32_e32 v13, v37, v13
	v_fma_f32 v37, v36, s13, -v41
	v_add_f32_e32 v14, v37, v14
	v_mul_f32_e32 v37, 0xbf4178ce, v34
	v_mov_b32_e32 v50, v41
	v_fma_f32 v41, v11, s15, -v37
	v_add_f32_e32 v39, v41, v39
	v_mul_f32_e32 v41, 0xbf4178ce, v12
	v_fmac_f32_e32 v37, 0xbf27a4f4, v11
	v_add_f32_e32 v35, v37, v35
	v_fma_f32 v37, v36, s15, -v41
	v_fmac_f32_e32 v50, 0x3ed4b147, v36
	v_add_f32_e32 v37, v37, v40
	v_mul_f32_e32 v40, 0x3e903f40, v34
	v_add_f32_e32 v42, v50, v42
	v_mov_b32_e32 v50, v41
	v_fma_f32 v41, v11, s16, -v40
	v_fmac_f32_e32 v50, 0xbf27a4f4, v36
	v_add_f32_e32 v41, v41, v45
	v_mul_f32_e32 v45, 0x3e903f40, v12
	v_add_f32_e32 v43, v50, v43
	v_mov_b32_e32 v50, v45
	v_fmac_f32_e32 v40, 0xbf75a155, v11
	v_fmac_f32_e32 v50, 0xbf75a155, v36
	v_add_f32_e32 v40, v40, v44
	v_fma_f32 v44, v36, s16, -v45
	v_mul_f32_e32 v45, 0x3f7d64f0, v34
	v_add_f32_e32 v50, v50, v54
	v_add_f32_e32 v44, v44, v52
	v_fma_f32 v52, v11, s14, -v45
	v_mul_f32_e32 v54, 0x3f7d64f0, v12
	v_fmac_f32_e32 v45, 0xbe11bafb, v11
	v_mul_f32_e32 v34, 0x3f0a6770, v34
	v_mul_f32_e32 v12, 0x3f0a6770, v12
	v_add_f32_e32 v45, v45, v56
	v_fma_f32 v56, v11, s12, -v34
	v_fmac_f32_e32 v34, 0x3f575c64, v11
	v_fma_f32 v11, v36, s12, -v12
	v_add_f32_e32 v52, v52, v58
	v_mov_b32_e32 v58, v54
	v_fma_f32 v54, v36, s14, -v54
	v_add_f32_e32 v10, v11, v10
	v_add_f32_e32 v11, v28, v33
	v_sub_f32_e32 v28, v28, v33
	v_sub_f32_e32 v33, v51, v61
	v_add_f32_e32 v54, v54, v60
	v_mov_b32_e32 v60, v12
	v_add_f32_e32 v9, v34, v9
	v_mul_f32_e32 v34, 0xbf7d64f0, v33
	v_fmac_f32_e32 v58, 0xbe11bafb, v36
	v_fmac_f32_e32 v60, 0x3f575c64, v36
	v_fma_f32 v36, v11, s14, -v34
	v_add_f32_e32 v12, v51, v61
	v_add_f32_e32 v36, v36, v38
	v_mul_f32_e32 v38, 0xbf7d64f0, v28
	v_fmac_f32_e32 v34, 0xbe11bafb, v11
	v_add_f32_e32 v13, v34, v13
	v_fma_f32 v34, v12, s14, -v38
	v_add_f32_e32 v14, v34, v14
	v_mul_f32_e32 v34, 0x3e903f40, v33
	v_mov_b32_e32 v51, v38
	v_fma_f32 v38, v11, s16, -v34
	v_add_f32_e32 v38, v38, v39
	v_mul_f32_e32 v39, 0x3e903f40, v28
	v_fmac_f32_e32 v34, 0xbf75a155, v11
	v_add_f32_e32 v34, v34, v35
	v_fma_f32 v35, v12, s16, -v39
	v_fmac_f32_e32 v51, 0xbe11bafb, v12
	v_add_f32_e32 v35, v35, v37
	v_mul_f32_e32 v37, 0x3f68dda4, v33
	v_add_f32_e32 v42, v51, v42
	v_mov_b32_e32 v51, v39
	v_fma_f32 v39, v11, s13, -v37
	v_fmac_f32_e32 v51, 0xbf75a155, v12
	v_add_f32_e32 v39, v39, v41
	v_mul_f32_e32 v41, 0x3f68dda4, v28
	v_add_f32_e32 v43, v51, v43
	v_mov_b32_e32 v51, v41
	v_fmac_f32_e32 v37, 0x3ed4b147, v11
	v_fmac_f32_e32 v51, 0x3ed4b147, v12
	v_add_f32_e32 v37, v37, v40
	v_fma_f32 v40, v12, s13, -v41
	v_mul_f32_e32 v41, 0xbf0a6770, v33
	v_add_f32_e32 v50, v51, v50
	v_add_f32_e32 v40, v40, v44
	v_fma_f32 v44, v11, s12, -v41
	v_mul_f32_e32 v51, 0xbf0a6770, v28
	v_fmac_f32_e32 v41, 0x3f575c64, v11
	v_mul_f32_e32 v33, 0xbf4178ce, v33
	v_mul_f32_e32 v28, 0xbf4178ce, v28
	v_add_f32_e32 v44, v44, v52
	v_mov_b32_e32 v52, v51
	v_add_f32_e32 v41, v41, v45
	v_fma_f32 v45, v12, s12, -v51
	v_fma_f32 v51, v11, s15, -v33
	v_fmac_f32_e32 v33, 0xbf27a4f4, v11
	v_fma_f32 v11, v12, s15, -v28
	v_add_f32_e32 v45, v45, v54
	v_mov_b32_e32 v54, v28
	v_add_f32_e32 v10, v11, v10
	v_add_f32_e32 v11, v29, v32
	v_sub_f32_e32 v28, v29, v32
	v_sub_f32_e32 v29, v53, v59
	v_mul_f32_e32 v32, 0xbf4178ce, v29
	v_add_f32_e32 v9, v33, v9
	v_fma_f32 v33, v11, s15, -v32
	v_fmac_f32_e32 v52, 0x3f575c64, v12
	v_fmac_f32_e32 v54, 0xbf27a4f4, v12
	v_add_f32_e32 v12, v53, v59
	v_add_f32_e32 v33, v33, v36
	v_mul_f32_e32 v36, 0xbf4178ce, v28
	v_fmac_f32_e32 v32, 0xbf27a4f4, v11
	v_add_f32_e32 v13, v32, v13
	v_fma_f32 v32, v12, s15, -v36
	v_add_f32_e32 v14, v32, v14
	v_mul_f32_e32 v32, 0x3f7d64f0, v29
	v_mov_b32_e32 v53, v36
	v_fma_f32 v36, v11, s14, -v32
	v_add_f32_e32 v36, v36, v38
	v_mul_f32_e32 v38, 0x3f7d64f0, v28
	v_fmac_f32_e32 v32, 0xbe11bafb, v11
	v_add_f32_e32 v32, v32, v34
	v_fma_f32 v34, v12, s14, -v38
	v_fmac_f32_e32 v53, 0xbf27a4f4, v12
	v_add_f32_e32 v34, v34, v35
	v_mul_f32_e32 v35, 0xbf0a6770, v29
	v_add_f32_e32 v42, v53, v42
	v_mov_b32_e32 v53, v38
	v_fma_f32 v38, v11, s12, -v35
	v_fmac_f32_e32 v53, 0xbe11bafb, v12
	v_add_f32_e32 v38, v38, v39
	v_mul_f32_e32 v39, 0xbf0a6770, v28
	v_fmac_f32_e32 v35, 0x3f575c64, v11
	v_add_f32_e32 v43, v53, v43
	v_mov_b32_e32 v53, v39
	v_add_f32_e32 v35, v35, v37
	v_fma_f32 v37, v12, s12, -v39
	v_mul_f32_e32 v39, 0xbe903f40, v29
	v_add_f32_e32 v37, v37, v40
	v_fma_f32 v40, v11, s16, -v39
	v_add_f32_e32 v56, v56, v64
	v_fmac_f32_e32 v53, 0x3f575c64, v12
	v_add_f32_e32 v40, v40, v44
	v_mul_f32_e32 v44, 0xbe903f40, v28
	v_fmac_f32_e32 v39, 0xbf75a155, v11
	v_mul_f32_e32 v29, 0x3f68dda4, v29
	v_add_f32_e32 v51, v51, v56
	v_add_f32_e32 v56, v53, v50
	v_mov_b32_e32 v50, v44
	v_add_f32_e32 v39, v39, v41
	v_fma_f32 v41, v12, s16, -v44
	v_fma_f32 v44, v11, s13, -v29
	v_mul_f32_e32 v28, 0x3f68dda4, v28
	v_fmac_f32_e32 v29, 0x3ed4b147, v11
	v_add_f32_e32 v9, v29, v9
	v_fma_f32 v11, v12, s13, -v28
	v_sub_f32_e32 v29, v55, v57
	v_add_f32_e32 v58, v58, v62
	v_add_f32_e32 v62, v44, v51
	v_mov_b32_e32 v44, v28
	v_add_f32_e32 v10, v11, v10
	v_add_f32_e32 v11, v30, v31
	v_sub_f32_e32 v28, v30, v31
	v_mul_f32_e32 v30, 0xbe903f40, v29
	v_add_f32_e32 v60, v60, v65
	v_add_f32_e32 v52, v52, v58
	v_fmac_f32_e32 v50, 0xbf75a155, v12
	v_fma_f32 v31, v11, s16, -v30
	v_add_f32_e32 v54, v54, v60
	v_add_f32_e32 v61, v50, v52
	v_fmac_f32_e32 v44, 0x3ed4b147, v12
	v_add_f32_e32 v12, v55, v57
	v_add_f32_e32 v50, v31, v33
	v_mul_f32_e32 v31, 0xbe903f40, v28
	v_fmac_f32_e32 v30, 0xbf75a155, v11
	v_add_f32_e32 v63, v44, v54
	v_add_f32_e32 v44, v30, v13
	v_fma_f32 v13, v12, s16, -v31
	v_add_f32_e32 v41, v41, v45
	v_add_f32_e32 v45, v13, v14
	v_mul_f32_e32 v13, 0x3f0a6770, v29
	v_fma_f32 v14, v11, s12, -v13
	v_add_f32_e32 v52, v14, v36
	v_mul_f32_e32 v14, 0x3f0a6770, v28
	v_fmac_f32_e32 v13, 0x3f575c64, v11
	v_add_f32_e32 v58, v13, v32
	v_fma_f32 v13, v12, s12, -v14
	v_add_f32_e32 v59, v13, v34
	v_mul_f32_e32 v13, 0xbf4178ce, v29
	v_mov_b32_e32 v30, v14
	v_fma_f32 v14, v11, s15, -v13
	v_fmac_f32_e32 v30, 0x3f575c64, v12
	v_add_f32_e32 v54, v14, v38
	v_mul_f32_e32 v14, 0xbf4178ce, v28
	v_add_f32_e32 v53, v30, v43
	v_mov_b32_e32 v30, v14
	v_fmac_f32_e32 v30, 0xbf27a4f4, v12
	v_fmac_f32_e32 v13, 0xbf27a4f4, v11
	v_add_f32_e32 v55, v30, v56
	v_add_f32_e32 v56, v13, v35
	v_fma_f32 v13, v12, s15, -v14
	v_add_f32_e32 v57, v13, v37
	v_mul_f32_e32 v13, 0x3f68dda4, v29
	v_fma_f32 v14, v11, s13, -v13
	v_add_f32_e32 v60, v14, v40
	v_mul_f32_e32 v14, 0x3f68dda4, v28
	v_fmac_f32_e32 v13, 0x3ed4b147, v11
	v_add_f32_e32 v66, v13, v39
	v_fma_f32 v13, v12, s13, -v14
	v_add_f32_e32 v67, v13, v41
	v_mul_f32_e32 v13, 0xbf7d64f0, v29
	v_mov_b32_e32 v30, v14
	v_fma_f32 v14, v11, s14, -v13
	v_add_f32_e32 v62, v14, v62
	v_mul_f32_e32 v14, 0xbf7d64f0, v28
	v_fmac_f32_e32 v13, 0xbe11bafb, v11
	v_mov_b32_e32 v33, v31
	v_mov_b32_e32 v28, v14
	v_add_f32_e32 v64, v13, v9
	v_fma_f32 v9, v12, s14, -v14
	v_fmac_f32_e32 v33, 0xbf75a155, v12
	v_fmac_f32_e32 v30, 0x3ed4b147, v12
	;; [unrolled: 1-line block ×3, first 2 shown]
	v_add_f32_e32 v65, v9, v10
	v_mul_u32_u24_e32 v9, 0x8f, v15
	v_add_f32_e32 v51, v33, v42
	v_add_f32_e32 v61, v30, v61
	;; [unrolled: 1-line block ×3, first 2 shown]
	v_add_lshl_u32 v78, v9, v71, 3
	ds_write2_b64 v78, v[48:49], v[50:51] offset1:13
	ds_write2_b64 v78, v[52:53], v[54:55] offset0:26 offset1:39
	ds_write2_b64 v78, v[60:61], v[62:63] offset0:52 offset1:65
	;; [unrolled: 1-line block ×4, first 2 shown]
	ds_write_b64 v78, v[44:45] offset:1040
	s_waitcnt lgkmcnt(0)
	s_barrier
	s_and_saveexec_b64 s[12:13], s[0:1]
	s_cbranch_execz .LBB0_9
; %bb.8:
	ds_read2_b64 v[48:51], v75 offset1:143
	ds_read2_b64 v[52:55], v8 offset0:30 offset1:173
	v_add_u32_e32 v8, 0x1000, v75
	ds_read2_b64 v[60:63], v8 offset0:60 offset1:203
	v_add_u32_e32 v8, 0x1800, v75
	;; [unrolled: 2-line block ×4, first 2 shown]
	ds_read2_b64 v[44:47], v8 offset0:22 offset1:165
	ds_read_b64 v[68:69], v75 offset:13728
.LBB0_9:
	s_or_b64 exec, exec, s[12:13]
	v_add_u32_e32 v8, 0xffffff71, v76
	v_cndmask_b32_e64 v8, v8, v76, s[0:1]
	v_mul_hi_i32_i24_e32 v9, 0x60, v8
	v_mul_i32_i24_e32 v8, 0x60, v8
	v_mov_b32_e32 v10, s3
	v_add_co_u32_e32 v71, vcc, s2, v8
	v_addc_co_u32_e32 v72, vcc, v10, v9, vcc
	global_load_dwordx4 v[32:35], v[71:72], off offset:1040
	global_load_dwordx4 v[28:31], v[71:72], off offset:1056
	global_load_dwordx4 v[12:15], v[71:72], off offset:1072
	global_load_dwordx4 v[8:11], v[71:72], off offset:1088
	global_load_dwordx4 v[36:39], v[71:72], off offset:1104
	global_load_dwordx4 v[40:43], v[71:72], off offset:1120
	s_mov_b32 s2, 0x3f62ad3f
	s_mov_b32 s12, 0x3f116cb1
	;; [unrolled: 1-line block ×6, first 2 shown]
	s_waitcnt vmcnt(5) lgkmcnt(6)
	v_mul_f32_e32 v71, v51, v33
	v_mul_f32_e32 v72, v50, v33
	s_waitcnt lgkmcnt(5)
	v_mul_f32_e32 v73, v53, v35
	v_mul_f32_e32 v74, v52, v35
	s_waitcnt vmcnt(1) lgkmcnt(1)
	v_mul_f32_e32 v94, v44, v39
	s_waitcnt vmcnt(0)
	v_mul_f32_e32 v96, v46, v41
	v_fma_f32 v50, v50, v32, -v71
	v_fmac_f32_e32 v72, v51, v32
	v_mul_f32_e32 v79, v55, v29
	v_mul_f32_e32 v80, v54, v29
	v_mul_f32_e32 v93, v45, v39
	v_mul_f32_e32 v95, v47, v41
	v_fma_f32 v51, v52, v34, -v73
	v_fmac_f32_e32 v74, v53, v34
	v_fmac_f32_e32 v94, v45, v38
	;; [unrolled: 1-line block ×3, first 2 shown]
	v_add_f32_e32 v45, v48, v50
	v_add_f32_e32 v47, v49, v72
	v_mul_f32_e32 v81, v61, v31
	v_mul_f32_e32 v82, v60, v31
	v_fma_f32 v52, v54, v28, -v79
	v_fmac_f32_e32 v80, v55, v28
	v_add_f32_e32 v45, v45, v51
	v_add_f32_e32 v47, v47, v74
	v_mul_f32_e32 v83, v63, v13
	v_mul_f32_e32 v84, v62, v13
	v_fma_f32 v53, v60, v30, -v81
	v_fmac_f32_e32 v82, v61, v30
	;; [unrolled: 6-line block ×6, first 2 shown]
	v_add_f32_e32 v45, v45, v60
	v_add_f32_e32 v47, v47, v88
	s_waitcnt lgkmcnt(0)
	v_mul_f32_e32 v97, v69, v43
	v_fma_f32 v57, v58, v36, -v91
	v_fmac_f32_e32 v92, v59, v36
	v_add_f32_e32 v45, v45, v56
	v_add_f32_e32 v47, v47, v90
	v_fma_f32 v58, v44, v38, -v93
	v_fma_f32 v44, v68, v42, -v97
	v_add_f32_e32 v45, v45, v57
	v_add_f32_e32 v47, v47, v92
	v_mul_f32_e32 v98, v68, v43
	v_fma_f32 v46, v46, v40, -v95
	v_add_f32_e32 v59, v50, v44
	v_sub_f32_e32 v50, v50, v44
	v_add_f32_e32 v45, v45, v58
	v_add_f32_e32 v47, v47, v94
	v_fmac_f32_e32 v98, v69, v42
	v_mul_f32_e32 v64, 0xbeedf032, v50
	v_add_f32_e32 v45, v45, v46
	v_add_f32_e32 v47, v47, v96
	v_mul_f32_e32 v68, 0xbf52af12, v50
	v_mul_f32_e32 v73, 0xbf7e222b, v50
	;; [unrolled: 1-line block ×5, first 2 shown]
	v_add_f32_e32 v61, v72, v98
	v_sub_f32_e32 v62, v72, v98
	v_mov_b32_e32 v66, v64
	v_add_f32_e32 v44, v45, v44
	v_add_f32_e32 v45, v47, v98
	v_mov_b32_e32 v69, v68
	v_mov_b32_e32 v79, v73
	;; [unrolled: 1-line block ×5, first 2 shown]
	v_fmac_f32_e32 v66, 0x3f62ad3f, v61
	v_fma_f32 v64, v61, s2, -v64
	v_fmac_f32_e32 v69, 0x3f116cb1, v61
	v_fma_f32 v68, v61, s12, -v68
	v_fmac_f32_e32 v79, 0x3df6dbef, v61
	v_fma_f32 v73, v61, s3, -v73
	v_fmac_f32_e32 v87, 0xbeb58ec6, v61
	v_fma_f32 v85, v61, s13, -v85
	v_fmac_f32_e32 v95, 0xbf3f9e67, v61
	v_fma_f32 v93, v61, s14, -v93
	v_fmac_f32_e32 v98, 0xbf788fa5, v61
	v_fma_f32 v50, v61, s15, -v50
	v_mul_f32_e32 v63, 0xbeedf032, v62
	v_add_f32_e32 v47, v49, v66
	v_add_f32_e32 v64, v49, v64
	v_mul_f32_e32 v66, 0xbf52af12, v62
	v_add_f32_e32 v69, v49, v69
	v_add_f32_e32 v68, v49, v68
	v_mul_f32_e32 v71, 0xbf7e222b, v62
	v_add_f32_e32 v79, v49, v79
	v_add_f32_e32 v73, v49, v73
	v_mul_f32_e32 v81, 0xbf6f5d39, v62
	v_add_f32_e32 v87, v49, v87
	v_add_f32_e32 v85, v49, v85
	v_mul_f32_e32 v89, 0xbf29c268, v62
	v_add_f32_e32 v95, v49, v95
	v_add_f32_e32 v93, v49, v93
	v_mul_f32_e32 v62, 0xbe750f2a, v62
	v_add_f32_e32 v98, v49, v98
	v_add_f32_e32 v49, v49, v50
	v_add_f32_e32 v50, v51, v46
	v_sub_f32_e32 v46, v51, v46
	v_sub_f32_e32 v51, v74, v96
	v_fma_f32 v65, v59, s2, -v63
	v_fmac_f32_e32 v63, 0x3f62ad3f, v59
	v_fma_f32 v67, v59, s12, -v66
	v_fmac_f32_e32 v66, 0x3f116cb1, v59
	;; [unrolled: 2-line block ×6, first 2 shown]
	v_mul_f32_e32 v61, 0xbf52af12, v51
	v_add_f32_e32 v65, v48, v65
	v_add_f32_e32 v63, v48, v63
	;; [unrolled: 1-line block ×12, first 2 shown]
	v_fma_f32 v62, v50, s12, -v61
	v_add_f32_e32 v59, v74, v96
	v_add_f32_e32 v62, v62, v65
	v_mul_f32_e32 v65, 0xbf52af12, v46
	v_fmac_f32_e32 v61, 0x3f116cb1, v50
	v_add_f32_e32 v61, v61, v63
	v_fma_f32 v63, v59, s12, -v65
	v_add_f32_e32 v63, v63, v64
	v_mul_f32_e32 v64, 0xbf6f5d39, v51
	v_mov_b32_e32 v74, v65
	v_fma_f32 v65, v50, s13, -v64
	v_fmac_f32_e32 v74, 0x3f116cb1, v59
	v_add_f32_e32 v65, v65, v67
	v_mul_f32_e32 v67, 0xbf6f5d39, v46
	v_fmac_f32_e32 v64, 0xbeb58ec6, v50
	v_add_f32_e32 v47, v74, v47
	v_mov_b32_e32 v74, v67
	v_add_f32_e32 v64, v64, v66
	v_fma_f32 v66, v59, s13, -v67
	v_mul_f32_e32 v67, 0xbe750f2a, v51
	v_add_f32_e32 v66, v66, v68
	v_fma_f32 v68, v50, s15, -v67
	v_fmac_f32_e32 v74, 0xbeb58ec6, v59
	v_add_f32_e32 v68, v68, v72
	v_mul_f32_e32 v72, 0xbe750f2a, v46
	v_add_f32_e32 v69, v74, v69
	v_mov_b32_e32 v74, v72
	v_fmac_f32_e32 v67, 0xbf788fa5, v50
	v_fmac_f32_e32 v74, 0xbf788fa5, v59
	v_add_f32_e32 v67, v67, v71
	v_fma_f32 v71, v59, s15, -v72
	v_mul_f32_e32 v72, 0x3f29c268, v51
	v_add_f32_e32 v74, v74, v79
	v_add_f32_e32 v71, v71, v73
	v_fma_f32 v73, v50, s14, -v72
	v_mul_f32_e32 v79, 0x3f29c268, v46
	v_add_f32_e32 v73, v73, v83
	v_mov_b32_e32 v83, v79
	v_fmac_f32_e32 v72, 0xbf3f9e67, v50
	v_fmac_f32_e32 v83, 0xbf3f9e67, v59
	v_add_f32_e32 v72, v72, v81
	v_fma_f32 v79, v59, s14, -v79
	v_mul_f32_e32 v81, 0x3f7e222b, v51
	v_add_f32_e32 v83, v83, v87
	v_add_f32_e32 v79, v79, v85
	v_fma_f32 v85, v50, s3, -v81
	v_mul_f32_e32 v87, 0x3f7e222b, v46
	v_add_f32_e32 v85, v85, v91
	v_mov_b32_e32 v91, v87
	v_fmac_f32_e32 v81, 0x3df6dbef, v50
	v_fma_f32 v87, v59, s3, -v87
	v_mul_f32_e32 v51, 0x3eedf032, v51
	v_mul_f32_e32 v46, 0x3eedf032, v46
	v_add_f32_e32 v81, v81, v89
	v_add_f32_e32 v87, v87, v93
	v_fma_f32 v89, v50, s2, -v51
	v_mov_b32_e32 v93, v46
	v_fmac_f32_e32 v51, 0x3f62ad3f, v50
	v_fma_f32 v46, v59, s2, -v46
	v_add_f32_e32 v48, v51, v48
	v_add_f32_e32 v46, v46, v49
	;; [unrolled: 1-line block ×3, first 2 shown]
	v_sub_f32_e32 v51, v52, v58
	v_sub_f32_e32 v52, v80, v94
	v_mul_f32_e32 v58, 0xbf7e222b, v52
	v_fmac_f32_e32 v91, 0x3df6dbef, v59
	v_fmac_f32_e32 v93, 0x3f62ad3f, v59
	v_fma_f32 v59, v49, s3, -v58
	v_add_f32_e32 v50, v80, v94
	v_add_f32_e32 v59, v59, v62
	v_mul_f32_e32 v62, 0xbf7e222b, v51
	v_fmac_f32_e32 v58, 0x3df6dbef, v49
	v_mov_b32_e32 v80, v62
	v_add_f32_e32 v58, v58, v61
	v_fma_f32 v61, v50, s3, -v62
	v_mul_f32_e32 v62, 0xbe750f2a, v52
	v_add_f32_e32 v61, v61, v63
	v_fma_f32 v63, v49, s15, -v62
	v_fmac_f32_e32 v80, 0x3df6dbef, v50
	v_add_f32_e32 v63, v63, v65
	v_mul_f32_e32 v65, 0xbe750f2a, v51
	v_fmac_f32_e32 v62, 0xbf788fa5, v49
	v_add_f32_e32 v47, v80, v47
	v_mov_b32_e32 v80, v65
	v_add_f32_e32 v62, v62, v64
	v_fma_f32 v64, v50, s15, -v65
	v_mul_f32_e32 v65, 0x3f6f5d39, v52
	v_add_f32_e32 v64, v64, v66
	v_fma_f32 v66, v49, s13, -v65
	v_fmac_f32_e32 v80, 0xbf788fa5, v50
	v_add_f32_e32 v66, v66, v68
	v_mul_f32_e32 v68, 0x3f6f5d39, v51
	v_fmac_f32_e32 v65, 0xbeb58ec6, v49
	v_add_f32_e32 v69, v80, v69
	v_mov_b32_e32 v80, v68
	v_add_f32_e32 v65, v65, v67
	v_fma_f32 v67, v50, s13, -v68
	v_mul_f32_e32 v68, 0x3eedf032, v52
	v_add_f32_e32 v67, v67, v71
	v_fma_f32 v71, v49, s2, -v68
	v_fmac_f32_e32 v80, 0xbeb58ec6, v50
	v_add_f32_e32 v71, v71, v73
	v_mul_f32_e32 v73, 0x3eedf032, v51
	v_add_f32_e32 v74, v80, v74
	v_mov_b32_e32 v80, v73
	v_fmac_f32_e32 v68, 0x3f62ad3f, v49
	v_fmac_f32_e32 v80, 0x3f62ad3f, v50
	v_add_f32_e32 v68, v68, v72
	v_fma_f32 v72, v50, s2, -v73
	v_mul_f32_e32 v73, 0xbf52af12, v52
	v_add_f32_e32 v80, v80, v83
	v_add_f32_e32 v72, v72, v79
	v_fma_f32 v79, v49, s12, -v73
	v_mul_f32_e32 v83, 0xbf52af12, v51
	v_fmac_f32_e32 v73, 0x3f116cb1, v49
	v_mul_f32_e32 v52, 0xbf29c268, v52
	v_add_f32_e32 v79, v79, v85
	v_mov_b32_e32 v85, v83
	v_add_f32_e32 v73, v73, v81
	v_fma_f32 v81, v50, s12, -v83
	v_fma_f32 v83, v49, s14, -v52
	v_mul_f32_e32 v51, 0xbf29c268, v51
	v_fmac_f32_e32 v52, 0xbf3f9e67, v49
	v_add_f32_e32 v48, v52, v48
	v_fma_f32 v49, v50, s14, -v51
	v_sub_f32_e32 v52, v82, v92
	v_add_f32_e32 v81, v81, v87
	v_mov_b32_e32 v87, v51
	v_add_f32_e32 v46, v49, v46
	v_add_f32_e32 v49, v53, v57
	v_sub_f32_e32 v51, v53, v57
	v_mul_f32_e32 v53, 0xbf6f5d39, v52
	v_fma_f32 v57, v49, s13, -v53
	v_fmac_f32_e32 v85, 0x3f116cb1, v50
	v_fmac_f32_e32 v87, 0xbf3f9e67, v50
	v_add_f32_e32 v50, v82, v92
	v_add_f32_e32 v57, v57, v59
	v_mul_f32_e32 v59, 0xbf6f5d39, v51
	v_fmac_f32_e32 v53, 0xbeb58ec6, v49
	v_mov_b32_e32 v82, v59
	v_add_f32_e32 v53, v53, v58
	v_fma_f32 v58, v50, s13, -v59
	v_mul_f32_e32 v59, 0x3f29c268, v52
	v_add_f32_e32 v58, v58, v61
	v_fma_f32 v61, v49, s14, -v59
	v_fmac_f32_e32 v82, 0xbeb58ec6, v50
	v_add_f32_e32 v61, v61, v63
	v_mul_f32_e32 v63, 0x3f29c268, v51
	v_fmac_f32_e32 v59, 0xbf3f9e67, v49
	v_add_f32_e32 v47, v82, v47
	v_mov_b32_e32 v82, v63
	v_add_f32_e32 v59, v59, v62
	v_fma_f32 v62, v50, s14, -v63
	v_mul_f32_e32 v63, 0x3eedf032, v52
	v_add_f32_e32 v62, v62, v64
	v_fma_f32 v64, v49, s2, -v63
	v_fmac_f32_e32 v82, 0xbf3f9e67, v50
	v_add_f32_e32 v64, v64, v66
	v_mul_f32_e32 v66, 0x3eedf032, v51
	v_fmac_f32_e32 v63, 0x3f62ad3f, v49
	v_add_f32_e32 v69, v82, v69
	;; [unrolled: 11-line block ×3, first 2 shown]
	v_mov_b32_e32 v82, v71
	v_add_f32_e32 v66, v66, v68
	v_fma_f32 v68, v50, s3, -v71
	v_mul_f32_e32 v71, 0x3e750f2a, v52
	v_add_f32_e32 v68, v68, v72
	v_fma_f32 v72, v49, s15, -v71
	v_fmac_f32_e32 v82, 0x3df6dbef, v50
	v_add_f32_e32 v72, v72, v79
	v_mul_f32_e32 v79, 0x3e750f2a, v51
	v_fmac_f32_e32 v71, 0xbf788fa5, v49
	v_mul_f32_e32 v52, 0x3f52af12, v52
	v_add_f32_e32 v80, v82, v80
	v_mov_b32_e32 v82, v79
	v_add_f32_e32 v71, v71, v73
	v_fma_f32 v73, v50, s15, -v79
	v_fma_f32 v79, v49, s12, -v52
	v_mul_f32_e32 v51, 0x3f52af12, v51
	v_fmac_f32_e32 v52, 0x3f116cb1, v49
	v_add_f32_e32 v48, v52, v48
	v_fma_f32 v49, v50, s12, -v51
	v_sub_f32_e32 v52, v84, v90
	v_add_f32_e32 v73, v73, v81
	v_mov_b32_e32 v81, v51
	v_add_f32_e32 v46, v49, v46
	v_add_f32_e32 v49, v54, v56
	v_sub_f32_e32 v51, v54, v56
	v_mul_f32_e32 v54, 0xbf29c268, v52
	v_add_f32_e32 v89, v89, v97
	v_fma_f32 v56, v49, s14, -v54
	v_add_f32_e32 v83, v83, v89
	v_fmac_f32_e32 v82, 0xbf788fa5, v50
	v_fmac_f32_e32 v81, 0x3f116cb1, v50
	v_add_f32_e32 v50, v84, v90
	v_add_f32_e32 v56, v56, v57
	v_mul_f32_e32 v57, 0xbf29c268, v51
	v_fmac_f32_e32 v54, 0xbf3f9e67, v49
	v_add_f32_e32 v79, v79, v83
	v_mov_b32_e32 v83, v57
	v_add_f32_e32 v53, v54, v53
	v_fma_f32 v54, v50, s14, -v57
	v_mul_f32_e32 v57, 0x3f7e222b, v52
	v_add_f32_e32 v54, v54, v58
	v_fma_f32 v58, v49, s3, -v57
	v_fmac_f32_e32 v83, 0xbf3f9e67, v50
	v_add_f32_e32 v58, v58, v61
	v_mul_f32_e32 v61, 0x3f7e222b, v51
	v_fmac_f32_e32 v57, 0x3df6dbef, v49
	v_add_f32_e32 v47, v83, v47
	v_mov_b32_e32 v83, v61
	v_add_f32_e32 v57, v57, v59
	v_fma_f32 v59, v50, s3, -v61
	v_mul_f32_e32 v61, 0xbf52af12, v52
	v_add_f32_e32 v59, v59, v62
	v_fma_f32 v62, v49, s12, -v61
	v_add_f32_e32 v62, v62, v64
	v_mul_f32_e32 v64, 0xbf52af12, v51
	v_fmac_f32_e32 v61, 0x3f116cb1, v49
	v_fmac_f32_e32 v83, 0x3df6dbef, v50
	v_add_f32_e32 v63, v61, v63
	v_fma_f32 v61, v50, s12, -v64
	v_add_f32_e32 v69, v83, v69
	v_mov_b32_e32 v83, v64
	v_add_f32_e32 v64, v61, v65
	v_mul_f32_e32 v61, 0x3e750f2a, v52
	v_fma_f32 v65, v49, s15, -v61
	v_add_f32_e32 v65, v65, v67
	v_mul_f32_e32 v67, 0x3e750f2a, v51
	v_fmac_f32_e32 v61, 0xbf788fa5, v49
	v_fmac_f32_e32 v83, 0x3f116cb1, v50
	v_add_f32_e32 v66, v61, v66
	v_fma_f32 v61, v50, s15, -v67
	v_add_f32_e32 v83, v83, v74
	v_mov_b32_e32 v74, v67
	v_add_f32_e32 v67, v61, v68
	v_mul_f32_e32 v61, 0x3eedf032, v52
	v_fma_f32 v68, v49, s2, -v61
	v_add_f32_e32 v93, v93, v98
	v_add_f32_e32 v68, v68, v72
	v_mul_f32_e32 v72, 0x3eedf032, v51
	v_fmac_f32_e32 v61, 0x3f62ad3f, v49
	v_add_f32_e32 v91, v91, v95
	v_add_f32_e32 v87, v87, v93
	v_fmac_f32_e32 v74, 0xbf788fa5, v50
	v_add_f32_e32 v71, v61, v71
	v_fma_f32 v61, v50, s2, -v72
	v_mul_f32_e32 v52, 0xbf6f5d39, v52
	v_add_f32_e32 v85, v85, v91
	v_add_f32_e32 v81, v81, v87
	;; [unrolled: 1-line block ×3, first 2 shown]
	v_mov_b32_e32 v74, v72
	v_add_f32_e32 v72, v61, v73
	v_fma_f32 v61, v49, s13, -v52
	v_mul_f32_e32 v51, 0xbf6f5d39, v51
	v_sub_f32_e32 v87, v55, v60
	v_add_f32_e32 v82, v82, v85
	v_add_f32_e32 v79, v61, v79
	v_mov_b32_e32 v61, v51
	v_fmac_f32_e32 v52, 0xbeb58ec6, v49
	v_fma_f32 v49, v50, s13, -v51
	v_add_f32_e32 v85, v86, v88
	v_sub_f32_e32 v86, v86, v88
	v_mul_f32_e32 v51, 0xbe750f2a, v87
	v_fmac_f32_e32 v74, 0x3f62ad3f, v50
	v_fmac_f32_e32 v61, 0xbeb58ec6, v50
	v_add_f32_e32 v48, v52, v48
	v_add_f32_e32 v84, v55, v60
	v_mul_f32_e32 v50, 0xbe750f2a, v86
	v_mov_b32_e32 v52, v51
	v_add_f32_e32 v49, v49, v46
	v_fma_f32 v46, v84, s15, -v50
	v_fmac_f32_e32 v52, 0xbf788fa5, v85
	v_fmac_f32_e32 v50, 0xbf788fa5, v84
	v_add_f32_e32 v47, v52, v47
	v_add_f32_e32 v73, v50, v53
	v_fma_f32 v50, v85, s15, -v51
	v_mul_f32_e32 v52, 0x3eedf032, v86
	v_add_f32_e32 v82, v74, v82
	v_add_f32_e32 v74, v50, v54
	v_fma_f32 v50, v84, s2, -v52
	v_mul_f32_e32 v53, 0x3eedf032, v87
	v_fmac_f32_e32 v52, 0x3f62ad3f, v84
	v_add_f32_e32 v60, v52, v57
	v_fma_f32 v52, v85, s2, -v53
	v_mul_f32_e32 v54, 0xbf29c268, v86
	v_add_f32_e32 v81, v61, v81
	v_add_f32_e32 v61, v52, v59
	v_fma_f32 v52, v84, s14, -v54
	v_mul_f32_e32 v55, 0xbf29c268, v87
	v_fmac_f32_e32 v54, 0xbf3f9e67, v84
	v_add_f32_e32 v46, v46, v56
	v_add_f32_e32 v50, v50, v58
	;; [unrolled: 1-line block ×3, first 2 shown]
	v_fma_f32 v54, v85, s14, -v55
	v_mul_f32_e32 v56, 0x3f52af12, v86
	v_add_f32_e32 v59, v54, v64
	v_fma_f32 v54, v84, s12, -v56
	v_mul_f32_e32 v57, 0x3f52af12, v87
	v_fmac_f32_e32 v56, 0x3f116cb1, v84
	v_mov_b32_e32 v51, v53
	v_add_f32_e32 v52, v52, v62
	v_add_f32_e32 v64, v56, v66
	v_fma_f32 v56, v85, s12, -v57
	v_mul_f32_e32 v62, 0xbf6f5d39, v86
	v_fmac_f32_e32 v51, 0x3f62ad3f, v85
	v_add_f32_e32 v54, v54, v65
	v_add_f32_e32 v65, v56, v67
	v_fma_f32 v56, v84, s13, -v62
	v_add_f32_e32 v51, v51, v69
	v_add_f32_e32 v56, v56, v68
	v_mul_f32_e32 v63, 0xbf6f5d39, v87
	v_mul_f32_e32 v68, 0x3f7e222b, v86
	;; [unrolled: 1-line block ×3, first 2 shown]
	v_mov_b32_e32 v53, v55
	v_mov_b32_e32 v55, v57
	;; [unrolled: 1-line block ×3, first 2 shown]
	v_fma_f32 v66, v84, s3, -v68
	v_mov_b32_e32 v67, v69
	v_fmac_f32_e32 v68, 0x3df6dbef, v84
	v_fmac_f32_e32 v53, 0xbf3f9e67, v85
	;; [unrolled: 1-line block ×5, first 2 shown]
	v_fma_f32 v63, v85, s13, -v63
	v_fmac_f32_e32 v67, 0x3df6dbef, v85
	v_add_f32_e32 v68, v68, v48
	v_fma_f32 v48, v85, s3, -v69
	v_add_f32_e32 v53, v53, v83
	v_add_f32_e32 v55, v55, v80
	;; [unrolled: 1-line block ×8, first 2 shown]
	s_and_saveexec_b64 s[2:3], s[0:1]
	s_cbranch_execz .LBB0_11
; %bb.10:
	v_add_u32_e32 v48, 0x800, v75
	ds_write2_b64 v48, v[50:51], v[52:53] offset0:30 offset1:173
	v_add_u32_e32 v48, 0x1000, v75
	ds_write2_b64 v48, v[54:55], v[56:57] offset0:60 offset1:203
	v_add_u32_e32 v48, 0x1800, v75
	ds_write2_b64 v48, v[66:67], v[68:69] offset0:90 offset1:233
	v_add_u32_e32 v48, 0x2200, v75
	ds_write2_b64 v48, v[62:63], v[64:65] offset0:56 offset1:199
	v_add_u32_e32 v48, 0x2c00, v75
	ds_write2_b64 v75, v[44:45], v[46:47] offset1:143
	ds_write2_b64 v48, v[58:59], v[60:61] offset0:22 offset1:165
	ds_write_b64 v75, v[73:74] offset:13728
.LBB0_11:
	s_or_b64 exec, exec, s[2:3]
	s_waitcnt lgkmcnt(0)
	s_barrier
	s_and_saveexec_b64 s[2:3], s[0:1]
	s_cbranch_execz .LBB0_13
; %bb.12:
	v_add_co_u32_e32 v85, vcc, s10, v75
	v_mov_b32_e32 v48, s11
	v_addc_co_u32_e32 v86, vcc, 0, v48, vcc
	v_add_co_u32_e32 v71, vcc, 0x3a18, v85
	v_addc_co_u32_e32 v72, vcc, 0, v86, vcc
	v_add_co_u32_e32 v79, vcc, 0x3000, v85
	v_addc_co_u32_e32 v80, vcc, 0, v86, vcc
	global_load_dwordx2 v[79:80], v[79:80], off offset:2584
	ds_read_b64 v[48:49], v75
	v_add_u32_e32 v87, 0x400, v75
	s_movk_i32 s12, 0x4000
	s_waitcnt vmcnt(0) lgkmcnt(0)
	v_mul_f32_e32 v81, v49, v80
	v_mul_f32_e32 v82, v48, v80
	v_fma_f32 v81, v48, v79, -v81
	v_fmac_f32_e32 v82, v49, v79
	global_load_dwordx2 v[48:49], v[71:72], off offset:1144
	ds_write_b64 v75, v[81:82]
	ds_read2_b64 v[79:82], v87 offset0:15 offset1:158
	s_waitcnt vmcnt(0) lgkmcnt(0)
	v_mul_f32_e32 v83, v80, v49
	v_mul_f32_e32 v84, v79, v49
	v_fma_f32 v83, v79, v48, -v83
	v_fmac_f32_e32 v84, v80, v48
	global_load_dwordx2 v[48:49], v[71:72], off offset:2288
	s_waitcnt vmcnt(0)
	v_mul_f32_e32 v79, v82, v49
	v_mul_f32_e32 v80, v81, v49
	v_fma_f32 v79, v81, v48, -v79
	v_fmac_f32_e32 v80, v82, v48
	global_load_dwordx2 v[48:49], v[71:72], off offset:3432
	ds_write2_b64 v87, v[83:84], v[79:80] offset0:15 offset1:158
	v_add_u32_e32 v83, 0xc00, v75
	ds_read2_b64 v[79:82], v83 offset0:45 offset1:188
	v_add_u32_e32 v87, 0x1400, v75
	s_waitcnt vmcnt(0) lgkmcnt(0)
	v_mul_f32_e32 v71, v80, v49
	v_mul_f32_e32 v72, v79, v49
	v_fma_f32 v71, v79, v48, -v71
	v_fmac_f32_e32 v72, v80, v48
	v_add_co_u32_e32 v48, vcc, s12, v85
	v_addc_co_u32_e32 v49, vcc, 0, v86, vcc
	global_load_dwordx2 v[48:49], v[48:49], off offset:3064
	s_movk_i32 s12, 0x5000
	s_waitcnt vmcnt(0)
	v_mul_f32_e32 v79, v82, v49
	v_mul_f32_e32 v80, v81, v49
	v_fma_f32 v79, v81, v48, -v79
	v_fmac_f32_e32 v80, v82, v48
	v_add_co_u32_e32 v48, vcc, s12, v85
	v_addc_co_u32_e32 v49, vcc, 0, v86, vcc
	ds_write2_b64 v83, v[71:72], v[79:80] offset0:45 offset1:188
	global_load_dwordx2 v[71:72], v[48:49], off offset:112
	ds_read2_b64 v[79:82], v87 offset0:75 offset1:218
	s_movk_i32 s12, 0x6000
	s_waitcnt vmcnt(0) lgkmcnt(0)
	v_mul_f32_e32 v83, v80, v72
	v_mul_f32_e32 v84, v79, v72
	v_fma_f32 v83, v79, v71, -v83
	v_fmac_f32_e32 v84, v80, v71
	global_load_dwordx2 v[71:72], v[48:49], off offset:1256
	s_waitcnt vmcnt(0)
	v_mul_f32_e32 v79, v82, v72
	v_mul_f32_e32 v80, v81, v72
	v_fma_f32 v79, v81, v71, -v79
	v_fmac_f32_e32 v80, v82, v71
	global_load_dwordx2 v[71:72], v[48:49], off offset:2400
	ds_write2_b64 v87, v[83:84], v[79:80] offset0:75 offset1:218
	global_load_dwordx2 v[48:49], v[48:49], off offset:3544
	v_add_u32_e32 v87, 0x1c00, v75
	ds_read2_b64 v[79:82], v87 offset0:105 offset1:248
	s_waitcnt vmcnt(1) lgkmcnt(0)
	v_mul_f32_e32 v83, v80, v72
	v_mul_f32_e32 v84, v79, v72
	v_fma_f32 v83, v79, v71, -v83
	v_fmac_f32_e32 v84, v80, v71
	s_waitcnt vmcnt(0)
	v_mul_f32_e32 v71, v82, v49
	v_mul_f32_e32 v72, v81, v49
	v_fma_f32 v71, v81, v48, -v71
	v_fmac_f32_e32 v72, v82, v48
	v_add_co_u32_e32 v48, vcc, s12, v85
	v_addc_co_u32_e32 v49, vcc, 0, v86, vcc
	ds_write2_b64 v87, v[83:84], v[71:72] offset0:105 offset1:248
	global_load_dwordx2 v[71:72], v[48:49], off offset:592
	v_add_u32_e32 v87, 0x2800, v75
	ds_read2_b64 v[79:82], v87 offset0:7 offset1:150
	v_add_u32_e32 v85, 0x3000, v75
	s_waitcnt vmcnt(0) lgkmcnt(0)
	v_mul_f32_e32 v83, v80, v72
	v_mul_f32_e32 v84, v79, v72
	v_fma_f32 v83, v79, v71, -v83
	v_fmac_f32_e32 v84, v80, v71
	global_load_dwordx2 v[71:72], v[48:49], off offset:1736
	s_waitcnt vmcnt(0)
	v_mul_f32_e32 v79, v82, v72
	v_mul_f32_e32 v80, v81, v72
	v_fma_f32 v79, v81, v71, -v79
	v_fmac_f32_e32 v80, v82, v71
	global_load_dwordx2 v[71:72], v[48:49], off offset:2880
	ds_write2_b64 v87, v[83:84], v[79:80] offset0:7 offset1:150
	global_load_dwordx2 v[48:49], v[48:49], off offset:4024
	ds_read2_b64 v[79:82], v85 offset0:37 offset1:180
	s_waitcnt vmcnt(1) lgkmcnt(0)
	v_mul_f32_e32 v83, v80, v72
	v_mul_f32_e32 v84, v79, v72
	v_fma_f32 v83, v79, v71, -v83
	v_fmac_f32_e32 v84, v80, v71
	s_waitcnt vmcnt(0)
	v_mul_f32_e32 v71, v82, v49
	v_mul_f32_e32 v72, v81, v49
	v_fma_f32 v71, v81, v48, -v71
	v_fmac_f32_e32 v72, v82, v48
	ds_write2_b64 v85, v[83:84], v[71:72] offset0:37 offset1:180
.LBB0_13:
	s_or_b64 exec, exec, s[2:3]
	s_waitcnt lgkmcnt(0)
	s_barrier
	s_and_saveexec_b64 s[2:3], s[0:1]
	s_cbranch_execz .LBB0_15
; %bb.14:
	v_add_u32_e32 v48, 0x800, v75
	ds_read2_b64 v[50:53], v48 offset0:30 offset1:173
	v_add_u32_e32 v48, 0x1000, v75
	ds_read2_b64 v[54:57], v48 offset0:60 offset1:203
	;; [unrolled: 2-line block ×4, first 2 shown]
	v_add_u32_e32 v48, 0x2c00, v75
	ds_read2_b64 v[44:47], v75 offset1:143
	ds_read2_b64 v[58:61], v48 offset0:22 offset1:165
	ds_read_b64 v[73:74], v75 offset:13728
.LBB0_15:
	s_or_b64 exec, exec, s[2:3]
	s_waitcnt lgkmcnt(0)
	v_sub_f32_e32 v101, v47, v74
	v_add_f32_e32 v79, v73, v46
	v_add_f32_e32 v107, v74, v47
	s_mov_b32 s12, 0x3f62ad3f
	v_mul_f32_e32 v91, 0xbeedf032, v101
	v_sub_f32_e32 v106, v51, v61
	v_mul_f32_e32 v92, 0x3f62ad3f, v107
	v_fma_f32 v48, v79, s12, -v91
	s_mov_b32 s13, 0x3f116cb1
	v_add_f32_e32 v80, v60, v50
	v_add_f32_e32 v113, v61, v51
	v_mul_f32_e32 v93, 0xbf52af12, v106
	v_sub_f32_e32 v81, v46, v73
	v_add_f32_e32 v48, v44, v48
	v_mov_b32_e32 v49, v92
	v_mul_f32_e32 v94, 0x3f116cb1, v113
	v_fma_f32 v82, v80, s13, -v93
	v_fmac_f32_e32 v49, 0xbeedf032, v81
	v_mul_f32_e32 v95, 0xbf52af12, v101
	v_sub_f32_e32 v83, v50, v60
	v_add_f32_e32 v48, v82, v48
	v_mov_b32_e32 v82, v94
	v_add_f32_e32 v49, v45, v49
	v_mul_f32_e32 v97, 0x3f116cb1, v107
	v_fma_f32 v71, v79, s13, -v95
	v_fmac_f32_e32 v82, 0xbf52af12, v83
	s_mov_b32 s14, 0xbeb58ec6
	v_mul_f32_e32 v99, 0xbf6f5d39, v106
	v_add_f32_e32 v71, v44, v71
	v_mov_b32_e32 v72, v97
	v_add_f32_e32 v49, v82, v49
	v_mul_f32_e32 v102, 0xbeb58ec6, v113
	v_fma_f32 v82, v80, s14, -v99
	v_fmac_f32_e32 v72, 0xbf52af12, v81
	v_add_f32_e32 v71, v82, v71
	v_mov_b32_e32 v82, v102
	v_add_f32_e32 v72, v45, v72
	v_fmac_f32_e32 v82, 0xbf6f5d39, v83
	v_sub_f32_e32 v112, v53, v59
	v_add_f32_e32 v72, v82, v72
	v_add_f32_e32 v82, v58, v52
	;; [unrolled: 1-line block ×3, first 2 shown]
	s_mov_b32 s15, 0x3df6dbef
	v_mul_f32_e32 v96, 0xbf7e222b, v112
	v_mul_f32_e32 v98, 0x3df6dbef, v118
	v_fma_f32 v85, v82, s15, -v96
	v_sub_f32_e32 v84, v52, v58
	v_add_f32_e32 v48, v85, v48
	v_mov_b32_e32 v85, v98
	v_fmac_f32_e32 v85, 0xbf7e222b, v84
	s_mov_b32 s16, 0xbf788fa5
	v_mul_f32_e32 v104, 0xbe750f2a, v112
	v_add_f32_e32 v49, v85, v49
	v_mul_f32_e32 v108, 0xbf788fa5, v118
	v_fma_f32 v85, v82, s16, -v104
	v_add_f32_e32 v71, v85, v71
	v_mov_b32_e32 v85, v108
	v_fmac_f32_e32 v85, 0xbe750f2a, v84
	v_sub_f32_e32 v117, v55, v65
	v_add_f32_e32 v72, v85, v72
	v_add_f32_e32 v85, v64, v54
	;; [unrolled: 1-line block ×3, first 2 shown]
	v_mul_f32_e32 v100, 0xbf6f5d39, v117
	v_mul_f32_e32 v103, 0xbeb58ec6, v122
	v_fma_f32 v87, v85, s14, -v100
	v_sub_f32_e32 v86, v54, v64
	v_add_f32_e32 v48, v87, v48
	v_mov_b32_e32 v87, v103
	v_fmac_f32_e32 v87, 0xbf6f5d39, v86
	v_mul_f32_e32 v110, 0x3f29c268, v117
	v_add_f32_e32 v49, v87, v49
	v_mul_f32_e32 v114, 0xbf3f9e67, v122
	v_fma_f32 v87, v85, s17, -v110
	v_add_f32_e32 v71, v87, v71
	v_mov_b32_e32 v87, v114
	v_fmac_f32_e32 v87, 0x3f29c268, v86
	v_sub_f32_e32 v121, v57, v63
	v_add_f32_e32 v72, v87, v72
	v_add_f32_e32 v87, v62, v56
	;; [unrolled: 1-line block ×3, first 2 shown]
	v_mul_f32_e32 v105, 0xbf29c268, v121
	v_mul_f32_e32 v109, 0xbf3f9e67, v125
	v_fma_f32 v89, v87, s17, -v105
	v_sub_f32_e32 v88, v56, v62
	v_add_f32_e32 v48, v89, v48
	v_mov_b32_e32 v89, v109
	v_fmac_f32_e32 v89, 0xbf29c268, v88
	v_mul_f32_e32 v116, 0x3f7e222b, v121
	v_add_f32_e32 v49, v89, v49
	v_mul_f32_e32 v119, 0x3df6dbef, v125
	v_fma_f32 v89, v87, s15, -v116
	v_add_f32_e32 v127, v89, v71
	v_mov_b32_e32 v71, v119
	v_sub_f32_e32 v124, v67, v69
	v_fmac_f32_e32 v71, 0x3f7e222b, v88
	v_add_f32_e32 v89, v68, v66
	v_add_f32_e32 v126, v69, v67
	v_mul_f32_e32 v111, 0xbe750f2a, v124
	v_add_f32_e32 v128, v71, v72
	v_mul_f32_e32 v115, 0xbf788fa5, v126
	v_fma_f32 v71, v89, s16, -v111
	v_sub_f32_e32 v90, v66, v68
	v_add_f32_e32 v71, v71, v48
	v_mov_b32_e32 v48, v115
	v_fmac_f32_e32 v48, 0xbe750f2a, v90
	v_mul_f32_e32 v123, 0x3f62ad3f, v126
	v_add_f32_e32 v72, v48, v49
	v_mul_f32_e32 v120, 0x3eedf032, v124
	v_mov_b32_e32 v49, v123
	v_fma_f32 v48, v89, s12, -v120
	v_fmac_f32_e32 v49, 0x3eedf032, v90
	v_add_f32_e32 v48, v48, v127
	v_add_f32_e32 v49, v49, v128
	s_barrier
	s_and_saveexec_b64 s[2:3], s[0:1]
	s_cbranch_execz .LBB0_17
; %bb.16:
	v_mul_f32_e32 v157, 0xbf788fa5, v107
	v_mov_b32_e32 v127, v157
	v_mul_f32_e32 v158, 0x3f62ad3f, v113
	v_fmac_f32_e32 v127, 0x3e750f2a, v81
	v_mov_b32_e32 v128, v158
	v_add_f32_e32 v127, v45, v127
	v_fmac_f32_e32 v128, 0xbeedf032, v83
	v_mul_f32_e32 v159, 0xbf3f9e67, v118
	v_add_f32_e32 v127, v128, v127
	v_mov_b32_e32 v128, v159
	v_fmac_f32_e32 v128, 0x3f29c268, v84
	v_mul_f32_e32 v160, 0x3f116cb1, v122
	v_add_f32_e32 v127, v128, v127
	v_mov_b32_e32 v128, v160
	v_fmac_f32_e32 v128, 0xbf52af12, v86
	v_mul_f32_e32 v161, 0xbeb58ec6, v125
	v_add_f32_e32 v127, v128, v127
	v_mov_b32_e32 v128, v161
	v_fmac_f32_e32 v128, 0x3f6f5d39, v88
	v_mul_f32_e32 v162, 0x3df6dbef, v126
	v_add_f32_e32 v127, v128, v127
	v_mov_b32_e32 v128, v162
	v_fmac_f32_e32 v128, 0xbf7e222b, v90
	v_mul_f32_e32 v163, 0xbe750f2a, v101
	v_add_f32_e32 v128, v128, v127
	v_mov_b32_e32 v127, v163
	v_mul_f32_e32 v164, 0x3eedf032, v106
	v_fmac_f32_e32 v127, 0xbf788fa5, v79
	v_mov_b32_e32 v129, v164
	v_add_f32_e32 v127, v44, v127
	v_fmac_f32_e32 v129, 0x3f62ad3f, v80
	v_mul_f32_e32 v165, 0xbf29c268, v112
	v_add_f32_e32 v127, v129, v127
	v_mov_b32_e32 v129, v165
	v_fmac_f32_e32 v129, 0xbf3f9e67, v82
	v_mul_f32_e32 v166, 0x3f52af12, v117
	v_add_f32_e32 v127, v129, v127
	v_mov_b32_e32 v129, v166
	v_fmac_f32_e32 v129, 0x3f116cb1, v85
	v_mul_f32_e32 v167, 0xbf6f5d39, v121
	v_add_f32_e32 v127, v129, v127
	v_mov_b32_e32 v129, v167
	v_fmac_f32_e32 v129, 0xbeb58ec6, v87
	v_mul_f32_e32 v168, 0x3f7e222b, v124
	v_add_f32_e32 v127, v129, v127
	v_mov_b32_e32 v129, v168
	v_fmac_f32_e32 v129, 0x3df6dbef, v89
	v_mul_f32_e32 v169, 0xbf3f9e67, v107
	v_add_f32_e32 v127, v129, v127
	;; [unrolled: 24-line block ×5, first 2 shown]
	v_mov_b32_e32 v131, v187
	v_mul_f32_e32 v188, 0x3f29c268, v106
	v_fmac_f32_e32 v131, 0xbeb58ec6, v79
	v_mov_b32_e32 v189, v188
	v_add_f32_e32 v131, v44, v131
	v_fmac_f32_e32 v189, 0xbf3f9e67, v80
	v_add_f32_e32 v131, v189, v131
	v_mul_f32_e32 v189, 0x3eedf032, v112
	v_mov_b32_e32 v190, v189
	v_fmac_f32_e32 v190, 0x3f62ad3f, v82
	v_add_f32_e32 v131, v190, v131
	v_mul_f32_e32 v190, 0xbf7e222b, v117
	v_mov_b32_e32 v191, v190
	v_fmac_f32_e32 v191, 0x3df6dbef, v85
	v_add_f32_e32 v46, v46, v44
	v_fmac_f32_e32 v157, 0xbe750f2a, v81
	v_add_f32_e32 v131, v191, v131
	v_mul_f32_e32 v191, 0x3e750f2a, v121
	v_add_f32_e32 v46, v50, v46
	v_add_f32_e32 v50, v45, v157
	v_fmac_f32_e32 v158, 0x3eedf032, v83
	v_mov_b32_e32 v192, v191
	v_add_f32_e32 v50, v158, v50
	v_fmac_f32_e32 v159, 0xbf29c268, v84
	v_fmac_f32_e32 v192, 0xbf788fa5, v87
	v_add_f32_e32 v50, v159, v50
	v_fmac_f32_e32 v160, 0x3f52af12, v86
	v_add_f32_e32 v131, v192, v131
	v_mul_f32_e32 v192, 0x3f52af12, v124
	v_add_f32_e32 v50, v160, v50
	v_fmac_f32_e32 v161, 0xbf6f5d39, v88
	v_mov_b32_e32 v193, v192
	v_add_f32_e32 v47, v47, v45
	v_add_f32_e32 v50, v161, v50
	v_fmac_f32_e32 v162, 0x3f7e222b, v90
	v_fmac_f32_e32 v193, 0x3f116cb1, v89
	v_add_f32_e32 v47, v51, v47
	v_add_f32_e32 v51, v162, v50
	v_fma_f32 v50, v79, s16, -v163
	v_add_f32_e32 v131, v193, v131
	v_mul_f32_e32 v193, 0x3df6dbef, v107
	v_add_f32_e32 v46, v52, v46
	v_add_f32_e32 v50, v44, v50
	v_fma_f32 v52, v80, s12, -v164
	v_mov_b32_e32 v107, v193
	v_mul_f32_e32 v113, 0xbf788fa5, v113
	v_add_f32_e32 v50, v52, v50
	v_fma_f32 v52, v82, s17, -v165
	v_fmac_f32_e32 v107, 0x3f7e222b, v81
	v_mov_b32_e32 v194, v113
	v_add_f32_e32 v50, v52, v50
	v_fma_f32 v52, v85, s13, -v166
	v_add_f32_e32 v107, v45, v107
	v_fmac_f32_e32 v194, 0x3e750f2a, v83
	v_mul_f32_e32 v118, 0xbeb58ec6, v118
	v_add_f32_e32 v50, v52, v50
	v_fma_f32 v52, v87, s14, -v167
	v_add_f32_e32 v107, v194, v107
	v_mov_b32_e32 v194, v118
	v_add_f32_e32 v50, v52, v50
	v_fma_f32 v52, v89, s15, -v168
	v_fmac_f32_e32 v169, 0xbf29c268, v81
	v_fmac_f32_e32 v194, 0xbf6f5d39, v84
	v_mul_f32_e32 v122, 0x3f62ad3f, v122
	v_add_f32_e32 v50, v52, v50
	v_add_f32_e32 v52, v45, v169
	v_fmac_f32_e32 v170, 0x3f7e222b, v83
	v_add_f32_e32 v107, v194, v107
	v_mov_b32_e32 v194, v122
	v_add_f32_e32 v52, v170, v52
	v_fmac_f32_e32 v171, 0xbf52af12, v84
	v_fmac_f32_e32 v194, 0xbeedf032, v86
	v_mul_f32_e32 v125, 0x3f116cb1, v125
	v_add_f32_e32 v52, v171, v52
	v_fmac_f32_e32 v172, 0x3e750f2a, v86
	v_add_f32_e32 v107, v194, v107
	v_mov_b32_e32 v194, v125
	v_add_f32_e32 v52, v172, v52
	v_fmac_f32_e32 v173, 0x3eedf032, v88
	v_fmac_f32_e32 v194, 0x3f52af12, v88
	v_mul_f32_e32 v126, 0xbf3f9e67, v126
	v_add_f32_e32 v52, v173, v52
	v_fmac_f32_e32 v174, 0xbf6f5d39, v90
	v_add_f32_e32 v107, v194, v107
	v_mov_b32_e32 v194, v126
	v_add_f32_e32 v47, v53, v47
	v_add_f32_e32 v53, v174, v52
	v_fma_f32 v52, v79, s17, -v175
	v_fmac_f32_e32 v194, 0x3f29c268, v90
	v_add_f32_e32 v46, v54, v46
	v_add_f32_e32 v52, v44, v52
	v_fma_f32 v54, v80, s15, -v176
	v_add_f32_e32 v107, v194, v107
	v_mul_f32_e32 v194, 0xbf7e222b, v101
	v_add_f32_e32 v52, v54, v52
	v_fma_f32 v54, v82, s13, -v177
	v_mov_b32_e32 v101, v194
	v_mul_f32_e32 v195, 0xbe750f2a, v106
	v_add_f32_e32 v52, v54, v52
	v_fma_f32 v54, v85, s16, -v178
	v_fmac_f32_e32 v101, 0x3df6dbef, v79
	v_mov_b32_e32 v106, v195
	v_add_f32_e32 v52, v54, v52
	v_fma_f32 v54, v87, s12, -v179
	v_add_f32_e32 v101, v44, v101
	v_fmac_f32_e32 v106, 0xbf788fa5, v80
	v_mul_f32_e32 v112, 0x3f6f5d39, v112
	v_add_f32_e32 v52, v54, v52
	v_fma_f32 v54, v89, s14, -v180
	v_fmac_f32_e32 v181, 0xbf6f5d39, v81
	v_add_f32_e32 v101, v106, v101
	v_mov_b32_e32 v106, v112
	v_add_f32_e32 v52, v54, v52
	v_add_f32_e32 v54, v45, v181
	v_fmac_f32_e32 v182, 0x3f29c268, v83
	v_fmac_f32_e32 v106, 0xbeb58ec6, v82
	v_mul_f32_e32 v117, 0x3eedf032, v117
	v_add_f32_e32 v54, v182, v54
	v_fmac_f32_e32 v183, 0x3eedf032, v84
	v_add_f32_e32 v101, v106, v101
	v_mov_b32_e32 v106, v117
	v_add_f32_e32 v54, v183, v54
	v_fmac_f32_e32 v184, 0xbf7e222b, v86
	v_fmac_f32_e32 v106, 0x3f62ad3f, v85
	v_mul_f32_e32 v121, 0xbf52af12, v121
	v_add_f32_e32 v54, v184, v54
	v_fmac_f32_e32 v185, 0x3e750f2a, v88
	v_add_f32_e32 v101, v106, v101
	v_mov_b32_e32 v106, v121
	v_add_f32_e32 v54, v185, v54
	v_fmac_f32_e32 v186, 0x3f52af12, v90
	v_fmac_f32_e32 v106, 0x3f116cb1, v87
	v_mul_f32_e32 v124, 0xbf29c268, v124
	v_add_f32_e32 v47, v55, v47
	v_add_f32_e32 v55, v186, v54
	v_fma_f32 v54, v79, s14, -v187
	v_mul_f32_e32 v136, 0xbf52af12, v81
	v_add_f32_e32 v101, v106, v101
	v_mov_b32_e32 v106, v124
	v_add_f32_e32 v46, v56, v46
	v_add_f32_e32 v54, v44, v54
	v_fma_f32 v56, v80, s17, -v188
	v_mul_f32_e32 v140, 0xbf6f5d39, v83
	v_fmac_f32_e32 v106, 0xbf3f9e67, v89
	v_sub_f32_e32 v97, v97, v136
	v_add_f32_e32 v54, v56, v54
	v_fma_f32 v56, v82, s12, -v189
	v_mul_f32_e32 v144, 0xbe750f2a, v84
	v_add_f32_e32 v106, v106, v101
	v_add_f32_e32 v97, v45, v97
	v_sub_f32_e32 v101, v102, v140
	v_add_f32_e32 v54, v56, v54
	v_fma_f32 v56, v85, s15, -v190
	v_mul_f32_e32 v148, 0x3f29c268, v86
	v_add_f32_e32 v97, v101, v97
	v_sub_f32_e32 v101, v108, v144
	v_add_f32_e32 v54, v56, v54
	v_fma_f32 v56, v87, s16, -v191
	v_mul_f32_e32 v133, 0x3f62ad3f, v79
	v_mul_f32_e32 v134, 0xbeedf032, v81
	;; [unrolled: 1-line block ×4, first 2 shown]
	v_add_f32_e32 v97, v101, v97
	v_sub_f32_e32 v101, v114, v148
	v_add_f32_e32 v47, v57, v47
	v_add_f32_e32 v54, v56, v54
	v_fma_f32 v56, v89, s13, -v192
	v_mul_f32_e32 v137, 0x3f116cb1, v80
	v_mul_f32_e32 v138, 0xbf52af12, v83
	;; [unrolled: 1-line block ×3, first 2 shown]
	v_add_f32_e32 v97, v101, v97
	v_sub_f32_e32 v101, v119, v152
	v_add_f32_e32 v95, v135, v95
	v_sub_f32_e32 v92, v92, v134
	v_add_f32_e32 v91, v133, v91
	v_add_f32_e32 v47, v67, v47
	;; [unrolled: 1-line block ×4, first 2 shown]
	v_fma_f32 v56, v79, s15, -v194
	v_mul_f32_e32 v139, 0xbeb58ec6, v80
	v_mul_f32_e32 v141, 0x3df6dbef, v82
	v_mul_f32_e32 v142, 0xbf7e222b, v84
	v_add_f32_e32 v97, v101, v97
	v_sub_f32_e32 v101, v123, v156
	v_add_f32_e32 v95, v44, v95
	v_add_f32_e32 v92, v45, v92
	v_sub_f32_e32 v94, v94, v138
	v_add_f32_e32 v91, v44, v91
	v_add_f32_e32 v93, v137, v93
	v_add_f32_e32 v47, v69, v47
	v_add_f32_e32 v46, v68, v46
	v_fmac_f32_e32 v193, 0xbf7e222b, v81
	v_add_f32_e32 v44, v44, v56
	v_fma_f32 v56, v80, s16, -v195
	v_mul_f32_e32 v143, 0xbf788fa5, v82
	v_mul_f32_e32 v145, 0xbeb58ec6, v85
	v_mul_f32_e32 v146, 0xbf6f5d39, v86
	v_add_f32_e32 v102, v101, v97
	v_add_f32_e32 v97, v139, v99
	v_add_f32_e32 v92, v94, v92
	v_sub_f32_e32 v94, v98, v142
	v_add_f32_e32 v91, v93, v91
	v_add_f32_e32 v93, v141, v96
	v_add_f32_e32 v47, v63, v47
	v_add_f32_e32 v46, v62, v46
	v_add_f32_e32 v45, v45, v193
	v_fmac_f32_e32 v113, 0xbe750f2a, v83
	v_add_f32_e32 v44, v56, v44
	v_fma_f32 v56, v82, s14, -v112
	v_mul_f32_e32 v147, 0xbf3f9e67, v85
	v_mul_f32_e32 v149, 0xbf3f9e67, v87
	v_mul_f32_e32 v150, 0xbf29c268, v88
	v_add_f32_e32 v95, v97, v95
	v_add_f32_e32 v97, v143, v104
	v_add_f32_e32 v92, v94, v92
	v_sub_f32_e32 v94, v103, v146
	v_add_f32_e32 v91, v93, v91
	;; [unrolled: 15-line block ×3, first 2 shown]
	v_add_f32_e32 v93, v149, v105
	v_add_f32_e32 v47, v59, v47
	;; [unrolled: 1-line block ×4, first 2 shown]
	v_fmac_f32_e32 v122, 0x3eedf032, v86
	v_add_f32_e32 v44, v56, v44
	v_fma_f32 v56, v87, s13, -v121
	v_mul_f32_e32 v155, 0x3f62ad3f, v89
	v_add_f32_e32 v95, v97, v95
	v_add_f32_e32 v97, v151, v116
	;; [unrolled: 1-line block ×3, first 2 shown]
	v_sub_f32_e32 v94, v115, v154
	v_add_f32_e32 v91, v93, v91
	v_add_f32_e32 v93, v153, v111
	;; [unrolled: 1-line block ×5, first 2 shown]
	v_fmac_f32_e32 v125, 0xbf52af12, v88
	v_add_f32_e32 v44, v56, v44
	v_fma_f32 v56, v89, s17, -v124
	v_add_f32_e32 v95, v97, v95
	v_add_f32_e32 v97, v155, v120
	;; [unrolled: 1-line block ×7, first 2 shown]
	v_fmac_f32_e32 v126, 0xbf29c268, v90
	v_add_f32_e32 v44, v56, v44
	v_lshlrev_b32_e32 v56, 3, v77
	v_add_f32_e32 v101, v97, v95
	v_add_f32_e32 v45, v126, v45
	ds_write2_b64 v56, v[46:47], v[91:92] offset1:1
	ds_write2_b64 v56, v[101:102], v[106:107] offset0:2 offset1:3
	ds_write2_b64 v56, v[131:132], v[129:130] offset0:4 offset1:5
	;; [unrolled: 1-line block ×5, first 2 shown]
	ds_write_b64 v56, v[71:72] offset:96
.LBB0_17:
	s_or_b64 exec, exec, s[2:3]
	s_waitcnt lgkmcnt(0)
	s_barrier
	ds_read2_b64 v[50:53], v75 offset1:169
	v_add_u32_e32 v44, 0x800, v75
	ds_read2_b64 v[54:57], v44 offset0:82 offset1:251
	v_add_u32_e32 v45, 0x1400, v75
	ds_read2_b64 v[58:61], v45 offset0:36 offset1:205
	;; [unrolled: 2-line block ×3, first 2 shown]
	s_waitcnt lgkmcnt(3)
	v_mul_f32_e32 v47, v21, v53
	v_mul_f32_e32 v21, v21, v52
	v_fmac_f32_e32 v47, v20, v52
	v_fma_f32 v20, v20, v53, -v21
	s_waitcnt lgkmcnt(2)
	v_mul_f32_e32 v21, v23, v55
	v_mul_f32_e32 v23, v23, v54
	v_add_u32_e32 v45, 0x2800, v75
	v_fmac_f32_e32 v21, v22, v54
	v_fma_f32 v22, v22, v55, -v23
	v_mul_f32_e32 v23, v17, v57
	v_mul_f32_e32 v17, v17, v56
	ds_read2_b64 v[66:69], v45 offset0:72 offset1:241
	ds_read_b64 v[45:46], v75 offset:13520
	v_fmac_f32_e32 v23, v16, v56
	v_fma_f32 v16, v16, v57, -v17
	s_waitcnt lgkmcnt(3)
	v_mul_f32_e32 v17, v19, v59
	v_mul_f32_e32 v19, v19, v58
	v_fmac_f32_e32 v17, v18, v58
	v_fma_f32 v18, v18, v59, -v19
	v_mul_f32_e32 v19, v5, v61
	v_mul_f32_e32 v5, v5, v60
	v_fmac_f32_e32 v19, v4, v60
	v_fma_f32 v4, v4, v61, -v5
	s_waitcnt lgkmcnt(2)
	v_mul_f32_e32 v5, v7, v63
	v_mul_f32_e32 v7, v7, v62
	v_fmac_f32_e32 v5, v6, v62
	v_fma_f32 v6, v6, v63, -v7
	v_mul_f32_e32 v7, v1, v65
	v_mul_f32_e32 v1, v1, v64
	;; [unrolled: 9-line block ×3, first 2 shown]
	v_fmac_f32_e32 v3, v24, v68
	v_fma_f32 v24, v24, v69, -v0
	s_waitcnt lgkmcnt(0)
	v_mul_f32_e32 v25, v27, v46
	v_mul_f32_e32 v0, v27, v45
	v_add_f32_e32 v1, v51, v20
	v_fmac_f32_e32 v25, v26, v45
	v_fma_f32 v26, v26, v46, -v0
	v_add_f32_e32 v0, v50, v47
	v_add_f32_e32 v1, v1, v22
	;; [unrolled: 1-line block ×17, first 2 shown]
	v_sub_f32_e32 v20, v20, v26
	v_add_f32_e32 v0, v0, v3
	v_add_f32_e32 v1, v1, v26
	v_mul_f32_e32 v26, 0xbf0a6770, v20
	v_mul_f32_e32 v55, 0xbf68dda4, v20
	;; [unrolled: 1-line block ×5, first 2 shown]
	v_add_f32_e32 v0, v0, v25
	v_add_f32_e32 v27, v47, v25
	v_sub_f32_e32 v25, v47, v25
	s_mov_b32 s12, 0x3f575c64
	v_mov_b32_e32 v46, v26
	v_mul_f32_e32 v47, 0x3f575c64, v45
	s_mov_b32 s2, 0x3ed4b147
	v_mov_b32_e32 v56, v55
	v_mul_f32_e32 v57, 0x3ed4b147, v45
	;; [unrolled: 3-line block ×5, first 2 shown]
	v_fmac_f32_e32 v46, 0x3f575c64, v27
	v_mov_b32_e32 v54, v47
	v_fma_f32 v26, v27, s12, -v26
	v_fmac_f32_e32 v56, 0x3ed4b147, v27
	v_mov_b32_e32 v58, v57
	v_fma_f32 v55, v27, s2, -v55
	;; [unrolled: 3-line block ×5, first 2 shown]
	v_fmac_f32_e32 v45, 0xbe903f40, v25
	v_add_f32_e32 v27, v21, v3
	v_sub_f32_e32 v3, v21, v3
	v_sub_f32_e32 v21, v22, v24
	v_fmac_f32_e32 v54, 0x3f0a6770, v25
	v_fmac_f32_e32 v47, 0xbf0a6770, v25
	;; [unrolled: 1-line block ×9, first 2 shown]
	v_add_f32_e32 v25, v51, v45
	v_add_f32_e32 v45, v22, v24
	v_mul_f32_e32 v22, 0xbf68dda4, v21
	v_mov_b32_e32 v24, v22
	v_add_f32_e32 v46, v50, v46
	v_fmac_f32_e32 v24, 0x3ed4b147, v27
	v_add_f32_e32 v24, v24, v46
	v_mul_f32_e32 v46, 0x3ed4b147, v45
	v_add_f32_e32 v26, v50, v26
	v_add_f32_e32 v47, v51, v47
	;; [unrolled: 1-line block ×10, first 2 shown]
	v_mov_b32_e32 v50, v46
	v_fma_f32 v22, v27, s2, -v22
	v_fmac_f32_e32 v46, 0xbf68dda4, v3
	v_add_f32_e32 v22, v22, v26
	v_add_f32_e32 v26, v46, v47
	v_mul_f32_e32 v46, 0xbf4178ce, v21
	v_mov_b32_e32 v47, v46
	v_fma_f32 v46, v27, s13, -v46
	v_add_f32_e32 v54, v51, v54
	v_add_f32_e32 v58, v51, v58
	;; [unrolled: 1-line block ×8, first 2 shown]
	v_fmac_f32_e32 v50, 0x3f68dda4, v3
	v_fmac_f32_e32 v47, 0xbf27a4f4, v27
	v_mul_f32_e32 v51, 0xbf27a4f4, v45
	v_add_f32_e32 v46, v46, v55
	v_mul_f32_e32 v55, 0x3e903f40, v21
	v_add_f32_e32 v50, v50, v54
	v_add_f32_e32 v47, v47, v56
	v_mov_b32_e32 v54, v51
	v_fmac_f32_e32 v51, 0xbf4178ce, v3
	v_mov_b32_e32 v56, v55
	v_fma_f32 v55, v27, s14, -v55
	v_fmac_f32_e32 v54, 0x3f4178ce, v3
	v_add_f32_e32 v51, v51, v57
	v_fmac_f32_e32 v56, 0xbf75a155, v27
	v_mul_f32_e32 v57, 0xbf75a155, v45
	v_add_f32_e32 v55, v55, v59
	v_mul_f32_e32 v59, 0x3f7d64f0, v21
	v_add_f32_e32 v54, v54, v58
	v_add_f32_e32 v56, v56, v60
	v_mov_b32_e32 v58, v57
	v_fmac_f32_e32 v57, 0x3e903f40, v3
	v_mov_b32_e32 v60, v59
	v_fmac_f32_e32 v58, 0xbe903f40, v3
	v_add_f32_e32 v57, v57, v61
	v_fmac_f32_e32 v60, 0xbe11bafb, v27
	v_mul_f32_e32 v61, 0xbe11bafb, v45
	v_mul_f32_e32 v45, 0x3f575c64, v45
	v_add_f32_e32 v58, v58, v62
	v_add_f32_e32 v60, v60, v64
	v_mov_b32_e32 v62, v61
	v_mov_b32_e32 v64, v45
	v_fmac_f32_e32 v45, 0x3f0a6770, v3
	v_fmac_f32_e32 v62, 0xbf7d64f0, v3
	v_fma_f32 v59, v27, s3, -v59
	v_fmac_f32_e32 v61, 0x3f7d64f0, v3
	v_mul_f32_e32 v21, 0x3f0a6770, v21
	v_fmac_f32_e32 v64, 0xbf0a6770, v3
	v_add_f32_e32 v3, v45, v25
	v_add_f32_e32 v25, v16, v2
	v_sub_f32_e32 v2, v16, v2
	v_add_f32_e32 v59, v59, v63
	v_mov_b32_e32 v63, v21
	v_fma_f32 v21, v27, s12, -v21
	v_mul_f32_e32 v16, 0xbf7d64f0, v2
	v_fmac_f32_e32 v63, 0x3f575c64, v27
	v_add_f32_e32 v20, v21, v20
	v_add_f32_e32 v21, v23, v53
	v_mov_b32_e32 v27, v16
	v_fmac_f32_e32 v27, 0xbe11bafb, v21
	v_sub_f32_e32 v23, v23, v53
	v_add_f32_e32 v24, v27, v24
	v_mul_f32_e32 v27, 0xbe11bafb, v25
	v_mov_b32_e32 v45, v27
	v_fma_f32 v16, v21, s3, -v16
	v_fmac_f32_e32 v27, 0xbf7d64f0, v23
	v_add_f32_e32 v16, v16, v22
	v_add_f32_e32 v22, v27, v26
	v_mul_f32_e32 v26, 0x3e903f40, v2
	v_mov_b32_e32 v27, v26
	v_fmac_f32_e32 v27, 0xbf75a155, v21
	v_fmac_f32_e32 v45, 0x3f7d64f0, v23
	v_add_f32_e32 v27, v27, v47
	v_mul_f32_e32 v47, 0xbf75a155, v25
	v_add_f32_e32 v45, v45, v50
	v_mov_b32_e32 v50, v47
	v_fma_f32 v26, v21, s14, -v26
	v_fmac_f32_e32 v47, 0x3e903f40, v23
	v_add_f32_e32 v26, v26, v46
	v_add_f32_e32 v46, v47, v51
	v_mul_f32_e32 v47, 0x3f68dda4, v2
	v_mov_b32_e32 v51, v47
	v_fma_f32 v47, v21, s2, -v47
	v_fmac_f32_e32 v51, 0x3ed4b147, v21
	v_add_f32_e32 v47, v47, v55
	v_mul_f32_e32 v55, 0xbf0a6770, v2
	v_fmac_f32_e32 v50, 0xbe903f40, v23
	v_add_f32_e32 v51, v51, v56
	v_mul_f32_e32 v53, 0x3ed4b147, v25
	v_mov_b32_e32 v56, v55
	v_fma_f32 v55, v21, s12, -v55
	v_mul_f32_e32 v2, 0xbf4178ce, v2
	v_add_f32_e32 v50, v50, v54
	v_mov_b32_e32 v54, v53
	v_fmac_f32_e32 v53, 0x3f68dda4, v23
	v_add_f32_e32 v55, v55, v59
	v_mov_b32_e32 v59, v2
	v_fma_f32 v2, v21, s13, -v2
	v_fmac_f32_e32 v54, 0xbf68dda4, v23
	v_add_f32_e32 v53, v53, v57
	v_fmac_f32_e32 v56, 0x3f575c64, v21
	v_mul_f32_e32 v57, 0x3f575c64, v25
	v_mul_f32_e32 v25, 0xbf27a4f4, v25
	v_add_f32_e32 v2, v2, v20
	v_add_f32_e32 v20, v17, v7
	v_sub_f32_e32 v7, v17, v7
	v_sub_f32_e32 v17, v18, v52
	v_add_f32_e32 v54, v54, v58
	v_add_f32_e32 v56, v56, v60
	v_mov_b32_e32 v58, v57
	v_fmac_f32_e32 v59, 0xbf27a4f4, v21
	v_mov_b32_e32 v60, v25
	v_add_f32_e32 v21, v18, v52
	v_mul_f32_e32 v18, 0xbf4178ce, v17
	v_fmac_f32_e32 v58, 0x3f0a6770, v23
	v_fmac_f32_e32 v57, 0xbf0a6770, v23
	;; [unrolled: 1-line block ×4, first 2 shown]
	v_mov_b32_e32 v23, v18
	v_fmac_f32_e32 v23, 0xbf27a4f4, v20
	v_add_f32_e32 v23, v23, v24
	v_mul_f32_e32 v24, 0xbf27a4f4, v21
	v_add_f32_e32 v3, v25, v3
	v_mov_b32_e32 v25, v24
	v_fma_f32 v18, v20, s13, -v18
	v_fmac_f32_e32 v24, 0xbf4178ce, v7
	v_add_f32_e32 v16, v18, v16
	v_add_f32_e32 v18, v24, v22
	v_mul_f32_e32 v22, 0x3f7d64f0, v17
	v_mov_b32_e32 v24, v22
	v_fmac_f32_e32 v24, 0xbe11bafb, v20
	v_fmac_f32_e32 v25, 0x3f4178ce, v7
	v_add_f32_e32 v24, v24, v27
	v_mul_f32_e32 v27, 0xbe11bafb, v21
	v_add_f32_e32 v25, v25, v45
	v_mov_b32_e32 v45, v27
	v_fma_f32 v22, v20, s3, -v22
	v_fmac_f32_e32 v27, 0x3f7d64f0, v7
	v_add_f32_e32 v22, v22, v26
	v_add_f32_e32 v26, v27, v46
	v_mul_f32_e32 v27, 0xbf0a6770, v17
	v_mov_b32_e32 v46, v27
	v_fmac_f32_e32 v45, 0xbf7d64f0, v7
	v_fmac_f32_e32 v46, 0x3f575c64, v20
	v_add_f32_e32 v45, v45, v50
	v_add_f32_e32 v50, v46, v51
	v_mul_f32_e32 v46, 0x3f575c64, v21
	v_mov_b32_e32 v51, v46
	v_fmac_f32_e32 v46, 0xbf0a6770, v7
	v_fma_f32 v27, v20, s12, -v27
	v_add_f32_e32 v52, v46, v53
	v_mul_f32_e32 v46, 0xbe903f40, v17
	v_add_f32_e32 v27, v27, v47
	v_mov_b32_e32 v47, v46
	v_fmac_f32_e32 v47, 0xbf75a155, v20
	v_fma_f32 v46, v20, s14, -v46
	v_mul_f32_e32 v17, 0x3f68dda4, v17
	v_add_f32_e32 v61, v61, v65
	v_add_f32_e32 v63, v63, v67
	v_fmac_f32_e32 v51, 0x3f0a6770, v7
	v_add_f32_e32 v53, v47, v56
	v_mul_f32_e32 v47, 0xbf75a155, v21
	v_add_f32_e32 v55, v46, v55
	v_mov_b32_e32 v46, v17
	v_add_f32_e32 v57, v57, v61
	v_add_f32_e32 v59, v59, v63
	;; [unrolled: 1-line block ×3, first 2 shown]
	v_mov_b32_e32 v54, v47
	v_fmac_f32_e32 v47, 0xbe903f40, v7
	v_fmac_f32_e32 v46, 0x3ed4b147, v20
	v_mul_f32_e32 v21, 0x3ed4b147, v21
	v_add_f32_e32 v62, v62, v66
	v_add_f32_e32 v64, v64, v68
	;; [unrolled: 1-line block ×4, first 2 shown]
	v_mov_b32_e32 v46, v21
	v_add_f32_e32 v58, v58, v62
	v_add_f32_e32 v60, v60, v64
	v_fmac_f32_e32 v54, 0x3e903f40, v7
	v_fmac_f32_e32 v46, 0xbf68dda4, v7
	v_sub_f32_e32 v63, v4, v6
	v_add_f32_e32 v54, v54, v58
	v_add_f32_e32 v58, v46, v60
	v_fma_f32 v17, v20, s2, -v17
	v_add_f32_e32 v60, v19, v5
	v_add_f32_e32 v61, v4, v6
	v_mul_f32_e32 v4, 0xbe903f40, v63
	v_add_f32_e32 v17, v17, v2
	v_fmac_f32_e32 v21, 0x3f68dda4, v7
	v_sub_f32_e32 v62, v19, v5
	v_mov_b32_e32 v2, v4
	v_mul_f32_e32 v5, 0xbf75a155, v61
	v_fma_f32 v4, v60, s14, -v4
	v_add_f32_e32 v59, v21, v3
	v_mov_b32_e32 v3, v5
	v_add_f32_e32 v46, v4, v16
	v_fmac_f32_e32 v5, 0xbe903f40, v62
	v_mul_f32_e32 v4, 0x3f0a6770, v63
	v_add_f32_e32 v47, v5, v18
	v_mov_b32_e32 v5, v4
	v_fmac_f32_e32 v5, 0x3f575c64, v60
	v_add_f32_e32 v20, v5, v24
	v_mul_f32_e32 v5, 0x3f575c64, v61
	v_mov_b32_e32 v6, v5
	v_fmac_f32_e32 v6, 0xbf0a6770, v62
	v_fma_f32 v4, v60, s12, -v4
	v_add_f32_e32 v21, v6, v45
	v_add_f32_e32 v6, v4, v22
	v_fmac_f32_e32 v5, 0x3f0a6770, v62
	v_mul_f32_e32 v4, 0xbf4178ce, v63
	v_add_f32_e32 v7, v5, v26
	v_mov_b32_e32 v5, v4
	v_fmac_f32_e32 v5, 0xbf27a4f4, v60
	v_add_f32_e32 v22, v5, v50
	v_mul_f32_e32 v5, 0xbf27a4f4, v61
	v_mov_b32_e32 v16, v5
	v_fmac_f32_e32 v2, 0xbf75a155, v60
	v_fmac_f32_e32 v16, 0x3f4178ce, v62
	v_add_f32_e32 v2, v2, v23
	v_add_f32_e32 v23, v16, v51
	v_mul_f32_e32 v16, 0x3f68dda4, v63
	v_mov_b32_e32 v18, v16
	v_fmac_f32_e32 v18, 0x3ed4b147, v60
	v_mul_f32_e32 v19, 0x3ed4b147, v61
	v_add_f32_e32 v24, v18, v53
	v_mov_b32_e32 v18, v19
	v_fmac_f32_e32 v3, 0x3e903f40, v62
	v_fmac_f32_e32 v18, 0xbf68dda4, v62
	v_fma_f32 v16, v60, s2, -v16
	v_add_f32_e32 v3, v3, v25
	v_fma_f32 v4, v60, s13, -v4
	v_add_f32_e32 v25, v18, v54
	v_add_f32_e32 v18, v16, v55
	v_mul_f32_e32 v16, 0xbf7d64f0, v63
	v_mul_f32_e32 v45, 0xbe11bafb, v61
	v_add_f32_e32 v4, v4, v27
	v_mov_b32_e32 v26, v16
	v_mov_b32_e32 v27, v45
	v_fmac_f32_e32 v5, 0xbf4178ce, v62
	v_fmac_f32_e32 v19, 0x3f68dda4, v62
	;; [unrolled: 1-line block ×4, first 2 shown]
	v_fma_f32 v16, v60, s3, -v16
	v_fmac_f32_e32 v45, 0xbf7d64f0, v62
	v_add_f32_e32 v5, v5, v52
	v_add_f32_e32 v19, v19, v56
	;; [unrolled: 1-line block ×6, first 2 shown]
	s_barrier
	ds_write2_b64 v78, v[0:1], v[2:3] offset1:13
	ds_write2_b64 v78, v[20:21], v[22:23] offset0:26 offset1:39
	ds_write2_b64 v78, v[24:25], v[26:27] offset0:52 offset1:65
	;; [unrolled: 1-line block ×4, first 2 shown]
	ds_write_b64 v78, v[46:47] offset:1040
	s_waitcnt lgkmcnt(0)
	s_barrier
	s_and_saveexec_b64 s[2:3], s[0:1]
	s_cbranch_execz .LBB0_19
; %bb.18:
	v_add_u32_e32 v4, 0x1000, v75
	ds_read2_b64 v[0:3], v75 offset1:143
	ds_read2_b64 v[20:23], v44 offset0:30 offset1:173
	ds_read2_b64 v[24:27], v4 offset0:60 offset1:203
	v_add_u32_e32 v4, 0x1800, v75
	ds_read2_b64 v[16:19], v4 offset0:90 offset1:233
	v_add_u32_e32 v4, 0x2200, v75
	v_add_u32_e32 v44, 0x2c00, v75
	ds_read2_b64 v[4:7], v4 offset0:56 offset1:199
	ds_read2_b64 v[46:49], v44 offset0:22 offset1:165
	ds_read_b64 v[71:72], v75 offset:13728
.LBB0_19:
	s_or_b64 exec, exec, s[2:3]
	s_and_saveexec_b64 s[2:3], s[0:1]
	s_cbranch_execz .LBB0_21
; %bb.20:
	s_waitcnt lgkmcnt(0)
	v_mul_f32_e32 v44, v43, v71
	v_mul_f32_e32 v45, v33, v2
	v_fma_f32 v44, v42, v72, -v44
	v_fma_f32 v45, v32, v3, -v45
	v_mul_f32_e32 v33, v33, v3
	v_add_f32_e32 v50, v44, v45
	v_fmac_f32_e32 v33, v32, v2
	v_mul_f32_e32 v32, v43, v72
	v_mul_f32_e32 v51, 0xbf788fa5, v50
	v_fmac_f32_e32 v32, v42, v71
	v_sub_f32_e32 v2, v33, v32
	v_mov_b32_e32 v3, v51
	v_fmac_f32_e32 v3, 0x3e750f2a, v2
	v_add_f32_e32 v42, v1, v3
	v_mul_f32_e32 v3, v41, v48
	v_fma_f32 v43, v40, v49, -v3
	v_mul_f32_e32 v3, v35, v20
	v_fma_f32 v52, v34, v21, -v3
	v_mul_f32_e32 v21, v35, v21
	v_add_f32_e32 v53, v43, v52
	v_fmac_f32_e32 v21, v34, v20
	v_mul_f32_e32 v20, v41, v49
	v_mul_f32_e32 v54, 0x3f62ad3f, v53
	v_fmac_f32_e32 v20, v40, v48
	v_mul_f32_e32 v35, v39, v46
	v_mul_f32_e32 v40, v29, v22
	v_sub_f32_e32 v3, v21, v20
	v_mov_b32_e32 v34, v54
	v_fma_f32 v35, v38, v47, -v35
	v_fma_f32 v40, v28, v23, -v40
	v_mul_f32_e32 v23, v29, v23
	v_fmac_f32_e32 v34, 0xbeedf032, v3
	v_add_f32_e32 v41, v35, v40
	v_fmac_f32_e32 v23, v28, v22
	v_mul_f32_e32 v22, v39, v47
	v_add_f32_e32 v34, v34, v42
	v_mul_f32_e32 v42, 0xbf3f9e67, v41
	v_fmac_f32_e32 v22, v38, v46
	v_sub_f32_e32 v28, v23, v22
	v_mov_b32_e32 v29, v42
	v_fmac_f32_e32 v29, 0x3f29c268, v28
	v_add_f32_e32 v29, v29, v34
	v_mul_f32_e32 v34, v37, v6
	v_mul_f32_e32 v38, v31, v24
	v_fma_f32 v34, v36, v7, -v34
	v_fma_f32 v38, v30, v25, -v38
	v_mul_f32_e32 v25, v31, v25
	v_add_f32_e32 v39, v34, v38
	v_fmac_f32_e32 v25, v30, v24
	v_mul_f32_e32 v24, v37, v7
	v_mul_f32_e32 v46, 0x3f116cb1, v39
	v_fmac_f32_e32 v24, v36, v6
	v_sub_f32_e32 v30, v25, v24
	v_mov_b32_e32 v6, v46
	v_fmac_f32_e32 v6, 0xbf52af12, v30
	v_mul_f32_e32 v7, v11, v4
	v_add_f32_e32 v6, v6, v29
	v_fma_f32 v29, v10, v5, -v7
	v_mul_f32_e32 v7, v13, v26
	v_fma_f32 v31, v12, v27, -v7
	v_mul_f32_e32 v27, v13, v27
	v_fmac_f32_e32 v27, v12, v26
	v_mul_f32_e32 v26, v11, v5
	v_mul_f32_e32 v5, v9, v18
	v_fma_f32 v48, v8, v19, -v5
	v_mul_f32_e32 v5, v15, v16
	v_add_f32_e32 v36, v29, v31
	v_fma_f32 v49, v14, v17, -v5
	v_mul_f32_e32 v57, v15, v17
	v_mul_f32_e32 v37, 0xbeb58ec6, v36
	v_fmac_f32_e32 v26, v10, v4
	v_add_f32_e32 v55, v48, v49
	v_fmac_f32_e32 v57, v14, v16
	v_mul_f32_e32 v16, v9, v19
	v_sub_f32_e32 v47, v27, v26
	v_mov_b32_e32 v4, v37
	v_mul_f32_e32 v56, 0x3df6dbef, v55
	v_fmac_f32_e32 v16, v8, v18
	v_fmac_f32_e32 v4, 0x3f6f5d39, v47
	v_sub_f32_e32 v58, v57, v16
	v_mov_b32_e32 v5, v56
	v_sub_f32_e32 v14, v45, v44
	v_add_f32_e32 v4, v4, v6
	v_fmac_f32_e32 v5, 0xbf7e222b, v58
	v_mul_f32_e32 v18, 0xbe750f2a, v14
	v_sub_f32_e32 v17, v52, v43
	v_add_f32_e32 v5, v5, v4
	v_add_f32_e32 v59, v32, v33
	v_mov_b32_e32 v4, v18
	v_mul_f32_e32 v61, 0x3eedf032, v17
	v_fmac_f32_e32 v4, 0xbf788fa5, v59
	v_add_f32_e32 v60, v20, v21
	v_mov_b32_e32 v6, v61
	v_sub_f32_e32 v19, v40, v35
	v_add_f32_e32 v4, v0, v4
	v_fmac_f32_e32 v6, 0x3f62ad3f, v60
	v_mul_f32_e32 v63, 0xbf29c268, v19
	v_add_f32_e32 v4, v6, v4
	v_add_f32_e32 v62, v22, v23
	v_mov_b32_e32 v6, v63
	v_sub_f32_e32 v65, v38, v34
	v_fmac_f32_e32 v6, 0xbf3f9e67, v62
	v_mul_f32_e32 v66, 0x3f52af12, v65
	v_add_f32_e32 v4, v6, v4
	v_add_f32_e32 v64, v24, v25
	v_mov_b32_e32 v6, v66
	v_sub_f32_e32 v68, v31, v29
	;; [unrolled: 6-line block ×3, first 2 shown]
	v_fmac_f32_e32 v6, 0xbeb58ec6, v67
	v_mul_f32_e32 v73, 0x3f7e222b, v72
	v_add_f32_e32 v4, v6, v4
	v_add_f32_e32 v71, v16, v57
	v_mov_b32_e32 v6, v73
	v_fmac_f32_e32 v6, 0x3df6dbef, v71
	v_mul_f32_e32 v74, 0xbf3f9e67, v50
	v_add_f32_e32 v4, v6, v4
	v_mov_b32_e32 v6, v74
	v_mul_f32_e32 v77, 0x3df6dbef, v53
	v_fmac_f32_e32 v6, 0x3f29c268, v2
	v_mov_b32_e32 v7, v77
	v_add_f32_e32 v6, v1, v6
	v_fmac_f32_e32 v7, 0xbf7e222b, v3
	v_mul_f32_e32 v78, 0x3f116cb1, v41
	v_add_f32_e32 v6, v7, v6
	v_mov_b32_e32 v7, v78
	v_fmac_f32_e32 v7, 0x3f52af12, v28
	v_mul_f32_e32 v79, 0xbf788fa5, v39
	v_add_f32_e32 v6, v7, v6
	v_mov_b32_e32 v7, v79
	v_fmac_f32_e32 v7, 0xbe750f2a, v30
	v_mul_f32_e32 v80, 0x3f62ad3f, v36
	v_add_f32_e32 v6, v7, v6
	v_mov_b32_e32 v7, v80
	v_fmac_f32_e32 v7, 0xbeedf032, v47
	v_mul_f32_e32 v81, 0xbeb58ec6, v55
	v_add_f32_e32 v6, v7, v6
	v_mov_b32_e32 v7, v81
	v_fmac_f32_e32 v7, 0x3f6f5d39, v58
	v_mul_f32_e32 v82, 0xbf29c268, v14
	v_add_f32_e32 v7, v7, v6
	v_mov_b32_e32 v6, v82
	v_mul_f32_e32 v83, 0x3f7e222b, v17
	v_fmac_f32_e32 v6, 0xbf3f9e67, v59
	v_mov_b32_e32 v8, v83
	v_add_f32_e32 v6, v0, v6
	v_fmac_f32_e32 v8, 0x3df6dbef, v60
	v_mul_f32_e32 v84, 0xbf52af12, v19
	v_add_f32_e32 v6, v8, v6
	v_mov_b32_e32 v8, v84
	v_fmac_f32_e32 v8, 0x3f116cb1, v62
	v_mul_f32_e32 v85, 0x3e750f2a, v65
	v_add_f32_e32 v6, v8, v6
	v_mov_b32_e32 v8, v85
	v_fmac_f32_e32 v8, 0xbf788fa5, v64
	v_mul_f32_e32 v86, 0x3eedf032, v68
	v_add_f32_e32 v6, v8, v6
	v_mov_b32_e32 v8, v86
	v_fmac_f32_e32 v8, 0x3f62ad3f, v67
	v_mul_f32_e32 v87, 0xbf6f5d39, v72
	v_add_f32_e32 v6, v8, v6
	v_mov_b32_e32 v8, v87
	v_fmac_f32_e32 v8, 0xbeb58ec6, v71
	v_mul_f32_e32 v88, 0xbeb58ec6, v50
	v_add_f32_e32 v6, v8, v6
	v_mov_b32_e32 v8, v88
	v_mul_f32_e32 v89, 0xbf3f9e67, v53
	v_fmac_f32_e32 v8, 0x3f6f5d39, v2
	v_mov_b32_e32 v9, v89
	v_add_f32_e32 v8, v1, v8
	v_fmac_f32_e32 v9, 0xbf29c268, v3
	v_mul_f32_e32 v90, 0x3f62ad3f, v41
	v_add_f32_e32 v8, v9, v8
	v_mov_b32_e32 v9, v90
	v_fmac_f32_e32 v9, 0xbeedf032, v28
	v_mul_f32_e32 v91, 0x3df6dbef, v39
	v_add_f32_e32 v8, v9, v8
	v_mov_b32_e32 v9, v91
	v_fmac_f32_e32 v9, 0x3f7e222b, v30
	v_mul_f32_e32 v92, 0xbf788fa5, v36
	v_add_f32_e32 v8, v9, v8
	v_mov_b32_e32 v9, v92
	v_fmac_f32_e32 v9, 0xbe750f2a, v47
	v_mul_f32_e32 v93, 0x3f116cb1, v55
	v_add_f32_e32 v8, v9, v8
	v_mov_b32_e32 v9, v93
	v_fmac_f32_e32 v9, 0xbf52af12, v58
	v_mul_f32_e32 v94, 0xbf6f5d39, v14
	v_add_f32_e32 v9, v9, v8
	v_mov_b32_e32 v8, v94
	v_mul_f32_e32 v95, 0x3f29c268, v17
	v_fmac_f32_e32 v8, 0xbeb58ec6, v59
	v_mov_b32_e32 v10, v95
	v_add_f32_e32 v8, v0, v8
	v_fmac_f32_e32 v10, 0xbf3f9e67, v60
	v_mul_f32_e32 v96, 0x3eedf032, v19
	v_add_f32_e32 v8, v10, v8
	v_mov_b32_e32 v10, v96
	v_fmac_f32_e32 v10, 0x3f62ad3f, v62
	v_mul_f32_e32 v97, 0xbf7e222b, v65
	v_add_f32_e32 v8, v10, v8
	v_mov_b32_e32 v10, v97
	v_fmac_f32_e32 v10, 0x3df6dbef, v64
	v_mul_f32_e32 v98, 0x3e750f2a, v68
	v_add_f32_e32 v8, v10, v8
	v_mov_b32_e32 v10, v98
	v_fmac_f32_e32 v10, 0xbf788fa5, v67
	v_mul_f32_e32 v99, 0x3f52af12, v72
	v_add_f32_e32 v8, v10, v8
	v_mov_b32_e32 v10, v99
	v_fmac_f32_e32 v10, 0x3f116cb1, v71
	v_mul_f32_e32 v100, 0x3df6dbef, v50
	v_add_f32_e32 v8, v10, v8
	v_mov_b32_e32 v10, v100
	v_mul_f32_e32 v101, 0xbf788fa5, v53
	v_fmac_f32_e32 v10, 0x3f7e222b, v2
	v_mov_b32_e32 v11, v101
	v_add_f32_e32 v10, v1, v10
	v_fmac_f32_e32 v11, 0x3e750f2a, v3
	v_mul_f32_e32 v102, 0xbeb58ec6, v41
	v_add_f32_e32 v10, v11, v10
	v_mov_b32_e32 v11, v102
	v_fmac_f32_e32 v11, 0xbf6f5d39, v28
	v_mul_f32_e32 v103, 0x3f62ad3f, v39
	v_add_f32_e32 v10, v11, v10
	v_mov_b32_e32 v11, v103
	v_fmac_f32_e32 v11, 0xbeedf032, v30
	v_mul_f32_e32 v104, 0x3f116cb1, v36
	v_add_f32_e32 v10, v11, v10
	v_mov_b32_e32 v11, v104
	v_fmac_f32_e32 v11, 0x3f52af12, v47
	v_mul_f32_e32 v105, 0xbf3f9e67, v55
	v_add_f32_e32 v10, v11, v10
	v_mov_b32_e32 v11, v105
	v_fmac_f32_e32 v11, 0x3f29c268, v58
	v_mul_f32_e32 v106, 0xbf7e222b, v14
	v_add_f32_e32 v11, v11, v10
	v_mov_b32_e32 v10, v106
	v_mul_f32_e32 v107, 0xbe750f2a, v17
	v_fmac_f32_e32 v10, 0x3df6dbef, v59
	v_mov_b32_e32 v12, v107
	v_add_f32_e32 v10, v0, v10
	v_fmac_f32_e32 v12, 0xbf788fa5, v60
	v_mul_f32_e32 v108, 0x3f6f5d39, v19
	v_add_f32_e32 v10, v12, v10
	v_mov_b32_e32 v12, v108
	v_fmac_f32_e32 v12, 0xbeb58ec6, v62
	v_mul_f32_e32 v109, 0x3eedf032, v65
	v_add_f32_e32 v10, v12, v10
	v_mov_b32_e32 v12, v109
	v_mul_f32_e32 v120, 0xbe750f2a, v19
	v_mul_f32_e32 v126, 0xbf7e222b, v19
	v_add_f32_e32 v19, v0, v33
	v_fmac_f32_e32 v12, 0x3f62ad3f, v64
	v_mul_f32_e32 v110, 0xbf52af12, v68
	v_add_f32_e32 v19, v21, v19
	v_add_f32_e32 v10, v12, v10
	v_mov_b32_e32 v12, v110
	v_add_f32_e32 v19, v23, v19
	v_fmac_f32_e32 v12, 0x3f116cb1, v67
	v_mul_f32_e32 v111, 0xbf29c268, v72
	v_add_f32_e32 v19, v25, v19
	v_add_f32_e32 v10, v12, v10
	v_mov_b32_e32 v12, v111
	;; [unrolled: 6-line block ×3, first 2 shown]
	v_mul_f32_e32 v113, 0xbeb58ec6, v53
	v_add_f32_e32 v16, v16, v19
	v_fmac_f32_e32 v12, 0x3f52af12, v2
	v_mov_b32_e32 v13, v113
	v_add_f32_e32 v16, v26, v16
	s_mov_b32 s12, 0xbf788fa5
	v_add_f32_e32 v12, v1, v12
	v_fmac_f32_e32 v13, 0x3f6f5d39, v3
	v_mul_f32_e32 v114, 0xbf788fa5, v41
	v_add_f32_e32 v16, v24, v16
	s_mov_b32 s13, 0x3f62ad3f
	v_add_f32_e32 v12, v13, v12
	v_mov_b32_e32 v13, v114
	v_add_f32_e32 v16, v22, v16
	v_fma_f32 v18, v59, s12, -v18
	s_mov_b32 s14, 0xbf3f9e67
	v_fmac_f32_e32 v13, 0x3e750f2a, v28
	v_mul_f32_e32 v115, 0xbf3f9e67, v39
	v_add_f32_e32 v16, v20, v16
	v_add_f32_e32 v18, v0, v18
	v_fma_f32 v20, v60, s13, -v61
	s_mov_b32 s15, 0x3f116cb1
	v_add_f32_e32 v12, v13, v12
	v_mov_b32_e32 v13, v115
	v_add_f32_e32 v18, v20, v18
	v_fma_f32 v20, v62, s14, -v63
	s_mov_b32 s16, 0xbeb58ec6
	v_fmac_f32_e32 v13, 0xbf29c268, v30
	v_mul_f32_e32 v116, 0x3df6dbef, v36
	v_add_f32_e32 v18, v20, v18
	v_fma_f32 v20, v64, s15, -v66
	s_mov_b32 s17, 0x3df6dbef
	v_add_f32_e32 v12, v13, v12
	v_mov_b32_e32 v13, v116
	v_add_f32_e32 v18, v20, v18
	v_fma_f32 v20, v67, s16, -v69
	v_fmac_f32_e32 v13, 0xbf7e222b, v47
	v_mul_f32_e32 v117, 0x3f62ad3f, v55
	v_add_f32_e32 v18, v20, v18
	v_fma_f32 v20, v71, s17, -v73
	v_fmac_f32_e32 v74, 0xbf29c268, v2
	v_add_f32_e32 v12, v13, v12
	v_mov_b32_e32 v13, v117
	v_add_f32_e32 v18, v20, v18
	v_add_f32_e32 v20, v1, v74
	v_fmac_f32_e32 v77, 0x3f7e222b, v3
	v_fmac_f32_e32 v13, 0xbeedf032, v58
	v_mul_f32_e32 v118, 0xbf52af12, v14
	v_add_f32_e32 v20, v77, v20
	v_fmac_f32_e32 v78, 0xbf52af12, v28
	v_add_f32_e32 v13, v13, v12
	v_mov_b32_e32 v12, v118
	v_mul_f32_e32 v119, 0xbf6f5d39, v17
	v_add_f32_e32 v20, v78, v20
	v_fmac_f32_e32 v79, 0x3e750f2a, v30
	v_fmac_f32_e32 v12, 0x3f116cb1, v59
	v_mov_b32_e32 v15, v119
	v_add_f32_e32 v20, v79, v20
	v_fmac_f32_e32 v80, 0x3eedf032, v47
	v_add_f32_e32 v12, v0, v12
	v_fmac_f32_e32 v15, 0xbeb58ec6, v60
	;; [unrolled: 2-line block ×3, first 2 shown]
	v_add_f32_e32 v12, v15, v12
	v_mov_b32_e32 v15, v120
	v_add_f32_e32 v21, v81, v20
	v_fma_f32 v20, v59, s14, -v82
	v_fmac_f32_e32 v15, 0xbf788fa5, v62
	v_mul_f32_e32 v121, 0x3f29c268, v65
	v_add_f32_e32 v20, v0, v20
	v_fma_f32 v22, v60, s17, -v83
	v_add_f32_e32 v12, v15, v12
	v_mov_b32_e32 v15, v121
	v_add_f32_e32 v20, v22, v20
	v_fma_f32 v22, v62, s15, -v84
	v_fmac_f32_e32 v15, 0xbf3f9e67, v64
	v_mul_f32_e32 v122, 0x3f7e222b, v68
	v_add_f32_e32 v20, v22, v20
	v_fma_f32 v22, v64, s12, -v85
	;; [unrolled: 8-line block ×3, first 2 shown]
	v_fmac_f32_e32 v88, 0xbf6f5d39, v2
	v_add_f32_e32 v12, v15, v12
	v_mov_b32_e32 v15, v123
	v_add_f32_e32 v20, v22, v20
	v_add_f32_e32 v22, v1, v88
	v_fmac_f32_e32 v89, 0x3f29c268, v3
	v_fmac_f32_e32 v15, 0x3f62ad3f, v71
	v_mul_f32_e32 v50, 0x3f62ad3f, v50
	v_add_f32_e32 v22, v89, v22
	v_fmac_f32_e32 v90, 0x3eedf032, v28
	v_add_f32_e32 v12, v15, v12
	v_mov_b32_e32 v15, v50
	v_mul_f32_e32 v53, 0x3f116cb1, v53
	v_add_f32_e32 v22, v90, v22
	v_fmac_f32_e32 v91, 0xbf7e222b, v30
	v_fmac_f32_e32 v15, 0x3eedf032, v2
	v_mov_b32_e32 v124, v53
	v_add_f32_e32 v22, v91, v22
	v_fmac_f32_e32 v92, 0x3e750f2a, v47
	v_add_f32_e32 v15, v1, v15
	v_fmac_f32_e32 v124, 0x3f52af12, v3
	v_mul_f32_e32 v41, 0x3df6dbef, v41
	v_add_f32_e32 v22, v92, v22
	v_fmac_f32_e32 v93, 0x3f52af12, v58
	v_add_f32_e32 v15, v124, v15
	v_mov_b32_e32 v124, v41
	v_add_f32_e32 v23, v93, v22
	v_fma_f32 v22, v59, s16, -v94
	v_fmac_f32_e32 v124, 0x3f7e222b, v28
	v_mul_f32_e32 v39, 0xbeb58ec6, v39
	v_add_f32_e32 v22, v0, v22
	v_fma_f32 v24, v60, s14, -v95
	v_add_f32_e32 v15, v124, v15
	v_mov_b32_e32 v124, v39
	v_add_f32_e32 v22, v24, v22
	v_fma_f32 v24, v62, s13, -v96
	v_fmac_f32_e32 v124, 0x3f6f5d39, v30
	v_mul_f32_e32 v36, 0xbf3f9e67, v36
	v_add_f32_e32 v22, v24, v22
	v_fma_f32 v24, v64, s17, -v97
	;; [unrolled: 8-line block ×3, first 2 shown]
	v_fmac_f32_e32 v100, 0xbf7e222b, v2
	v_add_f32_e32 v15, v124, v15
	v_mov_b32_e32 v124, v55
	v_add_f32_e32 v22, v24, v22
	v_add_f32_e32 v24, v1, v100
	v_fmac_f32_e32 v101, 0xbe750f2a, v3
	v_fmac_f32_e32 v124, 0x3e750f2a, v58
	v_add_f32_e32 v24, v101, v24
	v_fmac_f32_e32 v102, 0x3f6f5d39, v28
	v_add_f32_e32 v15, v124, v15
	v_mul_f32_e32 v124, 0xbeedf032, v14
	v_add_f32_e32 v24, v102, v24
	v_fmac_f32_e32 v103, 0x3eedf032, v30
	v_mov_b32_e32 v14, v124
	v_mul_f32_e32 v125, 0xbf52af12, v17
	v_add_f32_e32 v24, v103, v24
	v_fmac_f32_e32 v104, 0xbf52af12, v47
	v_fmac_f32_e32 v14, 0x3f62ad3f, v59
	v_mov_b32_e32 v17, v125
	v_add_f32_e32 v24, v104, v24
	v_fmac_f32_e32 v105, 0xbf29c268, v58
	v_add_f32_e32 v14, v0, v14
	v_fmac_f32_e32 v17, 0x3f116cb1, v60
	v_add_f32_e32 v25, v105, v24
	v_fma_f32 v24, v59, s17, -v106
	v_add_f32_e32 v14, v17, v14
	v_mov_b32_e32 v17, v126
	v_add_f32_e32 v24, v0, v24
	v_fma_f32 v26, v60, s12, -v107
	v_fmac_f32_e32 v17, 0x3df6dbef, v62
	v_mul_f32_e32 v65, 0xbf6f5d39, v65
	v_add_f32_e32 v24, v26, v24
	v_fma_f32 v26, v62, s16, -v108
	v_add_f32_e32 v14, v17, v14
	v_mov_b32_e32 v17, v65
	v_add_f32_e32 v24, v26, v24
	v_fma_f32 v26, v64, s13, -v109
	v_fmac_f32_e32 v17, 0xbeb58ec6, v64
	v_mul_f32_e32 v68, 0xbf29c268, v68
	v_add_f32_e32 v24, v26, v24
	v_fma_f32 v26, v67, s15, -v110
	v_add_f32_e32 v14, v17, v14
	v_mov_b32_e32 v17, v68
	v_add_f32_e32 v24, v26, v24
	v_fma_f32 v26, v71, s14, -v111
	v_fmac_f32_e32 v112, 0xbf52af12, v2
	v_fmac_f32_e32 v17, 0xbf3f9e67, v67
	v_mul_f32_e32 v72, 0xbe750f2a, v72
	v_add_f32_e32 v24, v26, v24
	v_add_f32_e32 v26, v1, v112
	v_fmac_f32_e32 v113, 0xbf6f5d39, v3
	v_add_f32_e32 v14, v17, v14
	v_mov_b32_e32 v17, v72
	v_add_f32_e32 v26, v113, v26
	v_fmac_f32_e32 v114, 0xbe750f2a, v28
	v_fmac_f32_e32 v17, 0xbf788fa5, v71
	v_add_f32_e32 v26, v114, v26
	v_fmac_f32_e32 v115, 0x3f29c268, v30
	v_add_f32_e32 v14, v17, v14
	v_add_f32_e32 v17, v45, v1
	;; [unrolled: 1-line block ×3, first 2 shown]
	v_fmac_f32_e32 v116, 0x3f7e222b, v47
	v_add_f32_e32 v17, v52, v17
	v_add_f32_e32 v26, v116, v26
	v_fmac_f32_e32 v117, 0x3eedf032, v58
	v_add_f32_e32 v17, v40, v17
	v_fmac_f32_e32 v51, 0xbe750f2a, v2
	v_add_f32_e32 v27, v117, v26
	v_fma_f32 v26, v59, s15, -v118
	v_fmac_f32_e32 v50, 0xbeedf032, v2
	v_fma_f32 v2, v59, s13, -v124
	v_add_f32_e32 v17, v38, v17
	v_add_f32_e32 v26, v0, v26
	v_add_f32_e32 v0, v0, v2
	v_fma_f32 v2, v60, s15, -v125
	v_add_f32_e32 v17, v31, v17
	v_add_f32_e32 v0, v2, v0
	v_fma_f32 v2, v62, s17, -v126
	v_add_f32_e32 v17, v49, v17
	v_add_f32_e32 v19, v1, v51
	v_fmac_f32_e32 v54, 0x3eedf032, v3
	v_add_f32_e32 v0, v2, v0
	v_fma_f32 v2, v64, s16, -v65
	v_add_f32_e32 v17, v48, v17
	v_add_f32_e32 v19, v54, v19
	v_fmac_f32_e32 v42, 0xbf29c268, v28
	v_add_f32_e32 v0, v2, v0
	v_fma_f32 v2, v67, s14, -v68
	v_add_f32_e32 v17, v29, v17
	v_add_f32_e32 v19, v42, v19
	v_fmac_f32_e32 v46, 0x3f52af12, v30
	v_fma_f32 v29, v60, s16, -v119
	v_add_f32_e32 v0, v2, v0
	v_fma_f32 v2, v71, s12, -v72
	v_add_f32_e32 v19, v46, v19
	v_fmac_f32_e32 v37, 0xbf6f5d39, v47
	v_add_f32_e32 v26, v29, v26
	v_fma_f32 v29, v62, s12, -v120
	v_add_f32_e32 v1, v1, v50
	v_fmac_f32_e32 v53, 0xbf52af12, v3
	v_add_f32_e32 v0, v2, v0
	v_add_u32_e32 v2, 0x800, v75
	v_add_f32_e32 v17, v34, v17
	v_add_f32_e32 v19, v37, v19
	v_fmac_f32_e32 v56, 0x3f7e222b, v58
	v_add_f32_e32 v26, v29, v26
	v_fma_f32 v29, v64, s14, -v121
	v_add_f32_e32 v1, v53, v1
	v_fmac_f32_e32 v41, 0xbf7e222b, v28
	ds_write2_b64 v2, v[12:13], v[10:11] offset0:30 offset1:173
	v_add_u32_e32 v2, 0x1000, v75
	v_add_f32_e32 v17, v35, v17
	v_add_f32_e32 v19, v56, v19
	;; [unrolled: 1-line block ×3, first 2 shown]
	v_fma_f32 v29, v67, s17, -v122
	v_add_f32_e32 v1, v41, v1
	v_fmac_f32_e32 v39, 0xbf6f5d39, v30
	ds_write2_b64 v2, v[8:9], v[6:7] offset0:60 offset1:203
	v_add_u32_e32 v2, 0x1800, v75
	v_add_f32_e32 v17, v43, v17
	v_add_f32_e32 v26, v29, v26
	v_fma_f32 v29, v71, s13, -v123
	v_add_f32_e32 v1, v39, v1
	v_fmac_f32_e32 v36, 0xbf29c268, v47
	ds_write2_b64 v2, v[4:5], v[18:19] offset0:90 offset1:233
	v_add_u32_e32 v2, 0x2200, v75
	v_add_f32_e32 v17, v44, v17
	v_add_f32_e32 v16, v32, v16
	;; [unrolled: 1-line block ×4, first 2 shown]
	v_fmac_f32_e32 v55, 0xbe750f2a, v58
	ds_write2_b64 v2, v[20:21], v[22:23] offset0:56 offset1:199
	v_add_u32_e32 v2, 0x2c00, v75
	v_add_f32_e32 v1, v55, v1
	ds_write2_b64 v75, v[16:17], v[14:15] offset1:143
	ds_write2_b64 v2, v[24:25], v[26:27] offset0:22 offset1:165
	ds_write_b64 v75, v[0:1] offset:13728
.LBB0_21:
	s_or_b64 exec, exec, s[2:3]
	s_waitcnt lgkmcnt(0)
	s_barrier
	s_and_b64 exec, exec, s[0:1]
	s_cbranch_execz .LBB0_23
; %bb.22:
	global_load_dwordx2 v[8:9], v75, s[10:11]
	global_load_dwordx2 v[10:11], v75, s[10:11] offset:1144
	global_load_dwordx2 v[12:13], v75, s[10:11] offset:2288
	;; [unrolled: 1-line block ×3, first 2 shown]
	v_mov_b32_e32 v0, s11
	v_mad_u64_u32 v[20:21], s[2:3], s4, v76, 0
	v_add_co_u32_e32 v35, vcc, s10, v75
	v_mad_u64_u32 v[18:19], s[0:1], s6, v70, 0
	s_mul_hi_u32 s6, s4, 0x478
	s_mul_i32 s2, s4, 0x478
	s_movk_i32 s4, 0x1000
	v_addc_co_u32_e32 v36, vcc, 0, v0, vcc
	v_add_co_u32_e32 v22, vcc, s4, v35
	v_addc_co_u32_e32 v23, vcc, 0, v36, vcc
	global_load_dwordx2 v[24:25], v[22:23], off offset:480
	s_mul_i32 s3, s5, 0x478
	s_add_i32 s3, s6, s3
	v_mad_u64_u32 v[26:27], s[6:7], s7, v70, v[19:20]
	v_add_u32_e32 v1, 0x400, v75
	v_add_u32_e32 v4, 0xc00, v75
	v_mad_u64_u32 v[27:28], s[4:5], s5, v76, v[21:22]
	ds_read_b64 v[16:17], v75
	ds_read2_b64 v[0:3], v1 offset0:15 offset1:158
	ds_read2_b64 v[4:7], v4 offset0:45 offset1:188
	global_load_dwordx2 v[28:29], v[22:23], off offset:1624
	global_load_dwordx2 v[30:31], v[22:23], off offset:2768
	;; [unrolled: 1-line block ×3, first 2 shown]
	v_mov_b32_e32 v19, v26
	v_mov_b32_e32 v21, v27
	s_mov_b32 s0, 0x2ab08acf
	s_mov_b32 s1, 0x3f41a06e
	v_lshlrev_b64 v[18:19], 3, v[18:19]
	v_mov_b32_e32 v34, s9
	v_lshlrev_b64 v[20:21], 3, v[20:21]
	v_add_co_u32_e32 v18, vcc, s8, v18
	v_addc_co_u32_e32 v19, vcc, v34, v19, vcc
	v_add_co_u32_e32 v18, vcc, v18, v20
	v_addc_co_u32_e32 v19, vcc, v19, v21, vcc
	v_mov_b32_e32 v37, s3
	v_add_co_u32_e32 v20, vcc, s2, v18
	v_addc_co_u32_e32 v21, vcc, v19, v37, vcc
	v_mov_b32_e32 v38, s3
	s_movk_i32 s4, 0x2000
	s_waitcnt vmcnt(7) lgkmcnt(2)
	v_mul_f32_e32 v22, v17, v9
	v_mul_f32_e32 v9, v16, v9
	s_waitcnt vmcnt(6) lgkmcnt(1)
	v_mul_f32_e32 v23, v1, v11
	s_waitcnt vmcnt(5)
	v_mul_f32_e32 v26, v3, v13
	v_mul_f32_e32 v13, v2, v13
	;; [unrolled: 1-line block ×3, first 2 shown]
	s_waitcnt vmcnt(4) lgkmcnt(0)
	v_mul_f32_e32 v27, v5, v15
	v_mul_f32_e32 v15, v4, v15
	v_fmac_f32_e32 v22, v16, v8
	v_fma_f32 v8, v8, v17, -v9
	v_fmac_f32_e32 v23, v0, v10
	v_fmac_f32_e32 v26, v2, v12
	v_fma_f32 v12, v12, v3, -v13
	v_fma_f32 v9, v10, v1, -v11
	v_fmac_f32_e32 v27, v4, v14
	v_fma_f32 v16, v14, v5, -v15
	v_cvt_f64_f32_e32 v[0:1], v22
	v_cvt_f64_f32_e32 v[2:3], v8
	;; [unrolled: 1-line block ×6, first 2 shown]
	v_mul_f64 v[0:1], v[0:1], s[0:1]
	v_mul_f64 v[2:3], v[2:3], s[0:1]
	;; [unrolled: 1-line block ×6, first 2 shown]
	v_cvt_f64_f32_e32 v[14:15], v27
	v_cvt_f64_f32_e32 v[16:17], v16
	v_cvt_f32_f64_e32 v0, v[0:1]
	v_cvt_f32_f64_e32 v1, v[2:3]
	;; [unrolled: 1-line block ×6, first 2 shown]
	v_add_co_u32_e32 v8, vcc, s2, v20
	v_addc_co_u32_e32 v9, vcc, v21, v38, vcc
	global_store_dwordx2 v[18:19], v[0:1], off
	global_store_dwordx2 v[20:21], v[2:3], off
	;; [unrolled: 1-line block ×3, first 2 shown]
	v_add_co_u32_e32 v4, vcc, s4, v35
	v_addc_co_u32_e32 v5, vcc, 0, v36, vcc
	global_load_dwordx2 v[10:11], v[4:5], off offset:960
	v_mul_f64 v[0:1], v[14:15], s[0:1]
	s_waitcnt vmcnt(7)
	v_mul_f32_e32 v12, v7, v25
	v_mul_f64 v[2:3], v[16:17], s[0:1]
	global_load_dwordx2 v[16:17], v[4:5], off offset:2104
	v_fmac_f32_e32 v12, v6, v24
	v_cvt_f64_f32_e32 v[12:13], v12
	v_mov_b32_e32 v18, s3
	v_add_co_u32_e32 v8, vcc, s2, v8
	v_cvt_f32_f64_e32 v14, v[0:1]
	v_mul_f64 v[12:13], v[12:13], s[0:1]
	v_mul_f32_e32 v0, v6, v25
	v_fma_f32 v0, v24, v7, -v0
	v_cvt_f64_f32_e32 v[6:7], v0
	v_add_u32_e32 v0, 0x1400, v75
	v_cvt_f32_f64_e32 v15, v[2:3]
	ds_read2_b64 v[0:3], v0 offset0:75 offset1:218
	v_mul_f64 v[6:7], v[6:7], s[0:1]
	v_cvt_f32_f64_e32 v12, v[12:13]
	v_addc_co_u32_e32 v9, vcc, v9, v18, vcc
	s_waitcnt vmcnt(7) lgkmcnt(0)
	v_mul_f32_e32 v13, v1, v29
	v_fmac_f32_e32 v13, v0, v28
	global_store_dwordx2 v[8:9], v[14:15], off
	v_cvt_f64_f32_e32 v[14:15], v13
	v_add_co_u32_e32 v8, vcc, s2, v8
	v_addc_co_u32_e32 v9, vcc, v9, v18, vcc
	s_movk_i32 s4, 0x3000
	v_cvt_f32_f64_e32 v13, v[6:7]
	v_mul_f64 v[6:7], v[14:15], s[0:1]
	v_add_co_u32_e32 v14, vcc, s4, v35
	v_addc_co_u32_e32 v15, vcc, 0, v36, vcc
	global_load_dwordx2 v[18:19], v[14:15], off offset:296
	v_mul_f32_e32 v0, v0, v29
	global_load_dwordx2 v[4:5], v[4:5], off offset:3248
	v_fma_f32 v0, v28, v1, -v0
	v_cvt_f64_f32_e32 v[0:1], v0
	v_cvt_f32_f64_e32 v6, v[6:7]
	global_store_dwordx2 v[8:9], v[12:13], off
	v_mov_b32_e32 v22, s3
	v_mul_f64 v[0:1], v[0:1], s[0:1]
	v_add_co_u32_e32 v8, vcc, s2, v8
	v_addc_co_u32_e32 v9, vcc, v9, v22, vcc
	v_cvt_f32_f64_e32 v7, v[0:1]
	s_waitcnt vmcnt(10)
	v_mul_f32_e32 v0, v3, v31
	v_fmac_f32_e32 v0, v2, v30
	v_cvt_f64_f32_e32 v[12:13], v0
	v_mul_f32_e32 v0, v2, v31
	v_fma_f32 v0, v30, v3, -v0
	v_cvt_f64_f32_e32 v[20:21], v0
	v_add_u32_e32 v0, 0x1c00, v75
	ds_read2_b64 v[0:3], v0 offset0:105 offset1:248
	global_store_dwordx2 v[8:9], v[6:7], off
	v_mul_f64 v[6:7], v[12:13], s[0:1]
	v_mul_f64 v[12:13], v[20:21], s[0:1]
	v_add_co_u32_e32 v8, vcc, s2, v8
	s_waitcnt vmcnt(10) lgkmcnt(0)
	v_mul_f32_e32 v20, v1, v33
	v_fmac_f32_e32 v20, v0, v32
	v_mul_f32_e32 v0, v0, v33
	v_fma_f32 v0, v32, v1, -v0
	v_cvt_f64_f32_e32 v[0:1], v0
	v_cvt_f64_f32_e32 v[20:21], v20
	v_cvt_f32_f64_e32 v6, v[6:7]
	v_cvt_f32_f64_e32 v7, v[12:13]
	v_mul_f64 v[0:1], v[0:1], s[0:1]
	v_mul_f64 v[12:13], v[20:21], s[0:1]
	v_mov_b32_e32 v20, s3
	v_addc_co_u32_e32 v9, vcc, v9, v20, vcc
	global_store_dwordx2 v[8:9], v[6:7], off
	v_add_co_u32_e32 v8, vcc, s2, v8
	v_cvt_f32_f64_e32 v7, v[0:1]
	s_waitcnt vmcnt(7)
	v_mul_f32_e32 v0, v3, v11
	v_fmac_f32_e32 v0, v2, v10
	v_cvt_f32_f64_e32 v6, v[12:13]
	v_cvt_f64_f32_e32 v[12:13], v0
	v_mul_f32_e32 v0, v2, v11
	v_fma_f32 v0, v10, v3, -v0
	v_cvt_f64_f32_e32 v[10:11], v0
	v_add_u32_e32 v0, 0x2800, v75
	ds_read2_b64 v[0:3], v0 offset0:7 offset1:150
	v_addc_co_u32_e32 v9, vcc, v9, v20, vcc
	global_store_dwordx2 v[8:9], v[6:7], off
	v_mul_f64 v[6:7], v[12:13], s[0:1]
	s_waitcnt vmcnt(7) lgkmcnt(0)
	v_mul_f32_e32 v12, v1, v17
	v_mul_f64 v[10:11], v[10:11], s[0:1]
	v_fmac_f32_e32 v12, v0, v16
	v_mul_f32_e32 v0, v0, v17
	v_fma_f32 v0, v16, v1, -v0
	v_cvt_f64_f32_e32 v[0:1], v0
	v_cvt_f64_f32_e32 v[12:13], v12
	v_cvt_f32_f64_e32 v6, v[6:7]
	v_add_co_u32_e32 v8, vcc, s2, v8
	v_mul_f64 v[0:1], v[0:1], s[0:1]
	v_cvt_f32_f64_e32 v7, v[10:11]
	v_mul_f64 v[10:11], v[12:13], s[0:1]
	v_mov_b32_e32 v12, s3
	v_addc_co_u32_e32 v9, vcc, v9, v12, vcc
	global_store_dwordx2 v[8:9], v[6:7], off
	v_add_co_u32_e32 v8, vcc, s2, v8
	v_cvt_f32_f64_e32 v7, v[0:1]
	v_cvt_f32_f64_e32 v6, v[10:11]
	v_addc_co_u32_e32 v9, vcc, v9, v12, vcc
	s_waitcnt vmcnt(5)
	v_mul_f32_e32 v0, v3, v5
	v_fmac_f32_e32 v0, v2, v4
	v_cvt_f64_f32_e32 v[10:11], v0
	v_mul_f32_e32 v0, v2, v5
	v_fma_f32 v0, v4, v3, -v0
	v_cvt_f64_f32_e32 v[4:5], v0
	v_add_u32_e32 v0, 0x3000, v75
	ds_read2_b64 v[0:3], v0 offset0:37 offset1:180
	global_store_dwordx2 v[8:9], v[6:7], off
	v_mul_f64 v[6:7], v[10:11], s[0:1]
	v_mul_f64 v[4:5], v[4:5], s[0:1]
	v_add_co_u32_e32 v8, vcc, s2, v8
	s_waitcnt lgkmcnt(0)
	v_mul_f32_e32 v10, v1, v19
	v_fmac_f32_e32 v10, v0, v18
	v_mul_f32_e32 v0, v0, v19
	v_fma_f32 v0, v18, v1, -v0
	v_cvt_f64_f32_e32 v[10:11], v10
	v_cvt_f64_f32_e32 v[0:1], v0
	v_cvt_f32_f64_e32 v6, v[6:7]
	v_cvt_f32_f64_e32 v7, v[4:5]
	v_mul_f64 v[4:5], v[10:11], s[0:1]
	v_mul_f64 v[0:1], v[0:1], s[0:1]
	v_mov_b32_e32 v10, s3
	v_addc_co_u32_e32 v9, vcc, v9, v10, vcc
	global_store_dwordx2 v[8:9], v[6:7], off
	v_cvt_f32_f64_e32 v4, v[4:5]
	v_cvt_f32_f64_e32 v5, v[0:1]
	v_mov_b32_e32 v1, s3
	v_add_co_u32_e32 v0, vcc, s2, v8
	v_addc_co_u32_e32 v1, vcc, v9, v1, vcc
	global_store_dwordx2 v[0:1], v[4:5], off
	global_load_dwordx2 v[4:5], v[14:15], off offset:1440
	v_add_co_u32_e32 v0, vcc, s2, v0
	s_waitcnt vmcnt(0)
	v_mul_f32_e32 v6, v3, v5
	v_fmac_f32_e32 v6, v2, v4
	v_mul_f32_e32 v2, v2, v5
	v_fma_f32 v2, v4, v3, -v2
	v_cvt_f64_f32_e32 v[6:7], v6
	v_cvt_f64_f32_e32 v[2:3], v2
	v_mul_f64 v[4:5], v[6:7], s[0:1]
	v_mul_f64 v[2:3], v[2:3], s[0:1]
	v_cvt_f32_f64_e32 v4, v[4:5]
	v_cvt_f32_f64_e32 v5, v[2:3]
	v_mov_b32_e32 v2, s3
	v_addc_co_u32_e32 v1, vcc, v1, v2, vcc
	global_store_dwordx2 v[0:1], v[4:5], off
.LBB0_23:
	s_endpgm
	.section	.rodata,"a",@progbits
	.p2align	6, 0x0
	.amdhsa_kernel bluestein_single_fwd_len1859_dim1_sp_op_CI_CI
		.amdhsa_group_segment_fixed_size 14872
		.amdhsa_private_segment_fixed_size 0
		.amdhsa_kernarg_size 104
		.amdhsa_user_sgpr_count 6
		.amdhsa_user_sgpr_private_segment_buffer 1
		.amdhsa_user_sgpr_dispatch_ptr 0
		.amdhsa_user_sgpr_queue_ptr 0
		.amdhsa_user_sgpr_kernarg_segment_ptr 1
		.amdhsa_user_sgpr_dispatch_id 0
		.amdhsa_user_sgpr_flat_scratch_init 0
		.amdhsa_user_sgpr_private_segment_size 0
		.amdhsa_uses_dynamic_stack 0
		.amdhsa_system_sgpr_private_segment_wavefront_offset 0
		.amdhsa_system_sgpr_workgroup_id_x 1
		.amdhsa_system_sgpr_workgroup_id_y 0
		.amdhsa_system_sgpr_workgroup_id_z 0
		.amdhsa_system_sgpr_workgroup_info 0
		.amdhsa_system_vgpr_workitem_id 0
		.amdhsa_next_free_vgpr 196
		.amdhsa_next_free_sgpr 18
		.amdhsa_reserve_vcc 1
		.amdhsa_reserve_flat_scratch 0
		.amdhsa_float_round_mode_32 0
		.amdhsa_float_round_mode_16_64 0
		.amdhsa_float_denorm_mode_32 3
		.amdhsa_float_denorm_mode_16_64 3
		.amdhsa_dx10_clamp 1
		.amdhsa_ieee_mode 1
		.amdhsa_fp16_overflow 0
		.amdhsa_exception_fp_ieee_invalid_op 0
		.amdhsa_exception_fp_denorm_src 0
		.amdhsa_exception_fp_ieee_div_zero 0
		.amdhsa_exception_fp_ieee_overflow 0
		.amdhsa_exception_fp_ieee_underflow 0
		.amdhsa_exception_fp_ieee_inexact 0
		.amdhsa_exception_int_div_zero 0
	.end_amdhsa_kernel
	.text
.Lfunc_end0:
	.size	bluestein_single_fwd_len1859_dim1_sp_op_CI_CI, .Lfunc_end0-bluestein_single_fwd_len1859_dim1_sp_op_CI_CI
                                        ; -- End function
	.section	.AMDGPU.csdata,"",@progbits
; Kernel info:
; codeLenInByte = 20408
; NumSgprs: 22
; NumVgprs: 196
; ScratchSize: 0
; MemoryBound: 0
; FloatMode: 240
; IeeeMode: 1
; LDSByteSize: 14872 bytes/workgroup (compile time only)
; SGPRBlocks: 2
; VGPRBlocks: 48
; NumSGPRsForWavesPerEU: 22
; NumVGPRsForWavesPerEU: 196
; Occupancy: 1
; WaveLimiterHint : 1
; COMPUTE_PGM_RSRC2:SCRATCH_EN: 0
; COMPUTE_PGM_RSRC2:USER_SGPR: 6
; COMPUTE_PGM_RSRC2:TRAP_HANDLER: 0
; COMPUTE_PGM_RSRC2:TGID_X_EN: 1
; COMPUTE_PGM_RSRC2:TGID_Y_EN: 0
; COMPUTE_PGM_RSRC2:TGID_Z_EN: 0
; COMPUTE_PGM_RSRC2:TIDIG_COMP_CNT: 0
	.type	__hip_cuid_27f782bc5db19dc,@object ; @__hip_cuid_27f782bc5db19dc
	.section	.bss,"aw",@nobits
	.globl	__hip_cuid_27f782bc5db19dc
__hip_cuid_27f782bc5db19dc:
	.byte	0                               ; 0x0
	.size	__hip_cuid_27f782bc5db19dc, 1

	.ident	"AMD clang version 19.0.0git (https://github.com/RadeonOpenCompute/llvm-project roc-6.4.0 25133 c7fe45cf4b819c5991fe208aaa96edf142730f1d)"
	.section	".note.GNU-stack","",@progbits
	.addrsig
	.addrsig_sym __hip_cuid_27f782bc5db19dc
	.amdgpu_metadata
---
amdhsa.kernels:
  - .args:
      - .actual_access:  read_only
        .address_space:  global
        .offset:         0
        .size:           8
        .value_kind:     global_buffer
      - .actual_access:  read_only
        .address_space:  global
        .offset:         8
        .size:           8
        .value_kind:     global_buffer
      - .actual_access:  read_only
        .address_space:  global
        .offset:         16
        .size:           8
        .value_kind:     global_buffer
      - .actual_access:  read_only
        .address_space:  global
        .offset:         24
        .size:           8
        .value_kind:     global_buffer
      - .actual_access:  read_only
        .address_space:  global
        .offset:         32
        .size:           8
        .value_kind:     global_buffer
      - .offset:         40
        .size:           8
        .value_kind:     by_value
      - .address_space:  global
        .offset:         48
        .size:           8
        .value_kind:     global_buffer
      - .address_space:  global
        .offset:         56
        .size:           8
        .value_kind:     global_buffer
      - .address_space:  global
        .offset:         64
        .size:           8
        .value_kind:     global_buffer
      - .address_space:  global
        .offset:         72
        .size:           8
        .value_kind:     global_buffer
      - .offset:         80
        .size:           4
        .value_kind:     by_value
      - .address_space:  global
        .offset:         88
        .size:           8
        .value_kind:     global_buffer
      - .address_space:  global
        .offset:         96
        .size:           8
        .value_kind:     global_buffer
    .group_segment_fixed_size: 14872
    .kernarg_segment_align: 8
    .kernarg_segment_size: 104
    .language:       OpenCL C
    .language_version:
      - 2
      - 0
    .max_flat_workgroup_size: 169
    .name:           bluestein_single_fwd_len1859_dim1_sp_op_CI_CI
    .private_segment_fixed_size: 0
    .sgpr_count:     22
    .sgpr_spill_count: 0
    .symbol:         bluestein_single_fwd_len1859_dim1_sp_op_CI_CI.kd
    .uniform_work_group_size: 1
    .uses_dynamic_stack: false
    .vgpr_count:     196
    .vgpr_spill_count: 0
    .wavefront_size: 64
amdhsa.target:   amdgcn-amd-amdhsa--gfx906
amdhsa.version:
  - 1
  - 2
...

	.end_amdgpu_metadata
